;; amdgpu-corpus repo=ROCm/rocFFT kind=compiled arch=gfx906 opt=O3
	.text
	.amdgcn_target "amdgcn-amd-amdhsa--gfx906"
	.amdhsa_code_object_version 6
	.protected	bluestein_single_back_len135_dim1_half_op_CI_CI ; -- Begin function bluestein_single_back_len135_dim1_half_op_CI_CI
	.globl	bluestein_single_back_len135_dim1_half_op_CI_CI
	.p2align	8
	.type	bluestein_single_back_len135_dim1_half_op_CI_CI,@function
bluestein_single_back_len135_dim1_half_op_CI_CI: ; @bluestein_single_back_len135_dim1_half_op_CI_CI
; %bb.0:
	v_mul_u32_u24_e32 v1, 0x1c72, v0
	s_load_dwordx4 s[16:19], s[4:5], 0x28
	v_lshrrev_b32_e32 v3, 16, v1
	v_mad_u64_u32 v[1:2], s[0:1], s6, 14, v[3:4]
	v_mov_b32_e32 v2, 0
	s_waitcnt lgkmcnt(0)
	v_cmp_gt_u64_e32 vcc, s[16:17], v[1:2]
	s_and_saveexec_b64 s[0:1], vcc
	s_cbranch_execz .LBB0_2
; %bb.1:
	s_load_dwordx4 s[8:11], s[4:5], 0x18
	s_load_dwordx4 s[0:3], s[4:5], 0x0
	v_mul_lo_u16_e32 v2, 9, v3
	v_sub_u16_e32 v48, v0, v2
	v_mov_b32_e32 v8, s19
	s_waitcnt lgkmcnt(0)
	s_load_dwordx4 s[12:15], s[8:9], 0x0
	v_lshlrev_b32_e32 v49, 2, v48
	v_mov_b32_e32 v35, 0xfffffe74
	s_load_dwordx2 s[4:5], s[4:5], 0x38
	s_waitcnt lgkmcnt(0)
	v_mad_u64_u32 v[2:3], s[6:7], s14, v1, 0
	v_mad_u64_u32 v[4:5], s[6:7], s12, v48, 0
	v_mov_b32_e32 v0, v3
	s_mul_i32 s8, s13, 0x6c
	v_mov_b32_e32 v3, v5
	v_mad_u64_u32 v[5:6], s[6:7], s15, v1, v[0:1]
	v_mad_u64_u32 v[6:7], s[6:7], s13, v48, v[3:4]
	v_mov_b32_e32 v3, v5
	v_lshlrev_b64 v[2:3], 2, v[2:3]
	v_mov_b32_e32 v5, v6
	v_add_co_u32_e32 v0, vcc, s18, v2
	v_addc_co_u32_e32 v6, vcc, v8, v3, vcc
	v_lshlrev_b64 v[2:3], 2, v[4:5]
	s_add_u32 s6, s0, 0x21c
	v_add_co_u32_e32 v2, vcc, v0, v2
	s_mul_hi_u32 s15, s12, 0x6c
	s_addc_u32 s7, s1, 0
	v_addc_co_u32_e32 v3, vcc, v6, v3, vcc
	s_add_i32 s15, s15, s8
	s_mul_i32 s16, s12, 0x6c
	global_load_dword v9, v[2:3], off
	global_load_dword v0, v49, s[0:1]
	v_mov_b32_e32 v4, s15
	v_add_co_u32_e32 v2, vcc, s16, v2
	v_addc_co_u32_e32 v3, vcc, v3, v4, vcc
	global_load_dword v10, v[2:3], off
	global_load_dword v47, v49, s[0:1] offset:108
	v_add_co_u32_e32 v2, vcc, s16, v2
	v_addc_co_u32_e32 v3, vcc, v3, v4, vcc
	global_load_dword v11, v[2:3], off
	global_load_dword v46, v49, s[0:1] offset:216
	v_lshrrev_b32_e32 v4, 1, v1
	s_mov_b32 s8, 0x92492493
	v_mul_hi_u32 v4, v4, s8
	v_add_co_u32_e32 v2, vcc, s16, v2
	v_mov_b32_e32 v5, s15
	v_lshrrev_b32_e32 v4, 2, v4
	v_mul_lo_u32 v4, v4, 14
	s_load_dwordx4 s[8:11], s[10:11], 0x0
	global_load_dword v45, v49, s[0:1] offset:324
	global_load_dword v44, v49, s[0:1] offset:432
	;; [unrolled: 1-line block ×7, first 2 shown]
	v_sub_u32_e32 v4, v1, v4
	v_mul_u32_u24_e32 v4, 0x87, v4
	v_lshlrev_b32_e32 v6, 2, v4
	v_mov_b32_e32 v4, s15
	v_addc_co_u32_e32 v3, vcc, v3, v4, vcc
	v_add_co_u32_e32 v4, vcc, s16, v2
	v_addc_co_u32_e32 v5, vcc, v3, v5, vcc
	global_load_dword v13, v[2:3], off
	global_load_dword v14, v[4:5], off
	v_mad_u64_u32 v[7:8], s[18:19], s12, v35, v[4:5]
	s_mulk_i32 s13, 0xfe74
	s_sub_i32 s17, s13, s12
	v_mov_b32_e32 v12, s15
	v_add_u32_e32 v8, s17, v8
	v_add_co_u32_e32 v2, vcc, s16, v7
	global_load_dword v4, v[7:8], off
	v_addc_co_u32_e32 v3, vcc, v8, v12, vcc
	v_add_u32_e32 v32, v49, v6
	global_load_dword v5, v[2:3], off
	v_add_co_u32_e32 v2, vcc, s16, v2
	s_mov_b32 s14, 0xffff
	s_waitcnt vmcnt(16)
	v_lshrrev_b32_e32 v7, 16, v9
	s_waitcnt vmcnt(15)
	v_mul_f16_sdwa v8, v0, v9 dst_sel:DWORD dst_unused:UNUSED_PAD src0_sel:WORD_1 src1_sel:DWORD
	v_mul_f16_sdwa v12, v0, v7 dst_sel:DWORD dst_unused:UNUSED_PAD src0_sel:WORD_1 src1_sel:DWORD
	v_fma_f16 v7, v0, v7, -v8
	v_fma_f16 v9, v0, v9, v12
	v_pack_b32_f16 v9, v9, v7
	s_waitcnt vmcnt(14)
	v_lshrrev_b32_e32 v8, 16, v10
	s_waitcnt vmcnt(13)
	v_mul_f16_sdwa v15, v47, v10 dst_sel:DWORD dst_unused:UNUSED_PAD src0_sel:WORD_1 src1_sel:DWORD
	v_mul_f16_sdwa v12, v47, v8 dst_sel:DWORD dst_unused:UNUSED_PAD src0_sel:WORD_1 src1_sel:DWORD
	v_fma_f16 v8, v47, v8, -v15
	v_fma_f16 v7, v47, v10, v12
	v_pack_b32_f16 v7, v7, v8
	ds_write_b32 v32, v7 offset:108
	v_mov_b32_e32 v7, s15
	v_addc_co_u32_e32 v3, vcc, v3, v7, vcc
	global_load_dword v12, v[2:3], off
	v_add_co_u32_e32 v2, vcc, s16, v2
	v_addc_co_u32_e32 v3, vcc, v3, v7, vcc
	global_load_dword v16, v[2:3], off
	global_load_dword v41, v49, s[0:1] offset:360
	v_add_co_u32_e32 v2, vcc, s16, v2
	v_addc_co_u32_e32 v3, vcc, v3, v7, vcc
	global_load_dword v17, v[2:3], off
	global_load_dword v39, v49, s[0:1] offset:468
	v_mad_u64_u32 v[2:3], s[12:13], s12, v35, v[2:3]
	s_waitcnt vmcnt(17)
	v_lshrrev_b32_e32 v15, 16, v11
	s_waitcnt vmcnt(16)
	v_mul_f16_sdwa v10, v46, v15 dst_sel:DWORD dst_unused:UNUSED_PAD src0_sel:WORD_1 src1_sel:DWORD
	v_mul_f16_sdwa v7, v46, v11 dst_sel:DWORD dst_unused:UNUSED_PAD src0_sel:WORD_1 src1_sel:DWORD
	v_fma_f16 v8, v46, v11, v10
	v_fma_f16 v7, v46, v15, -v7
	v_add_u32_e32 v3, s17, v3
	v_pack_b32_f16 v7, v8, v7
	global_load_dword v8, v[2:3], off
	v_mov_b32_e32 v10, s15
	v_add_co_u32_e32 v2, vcc, s16, v2
	v_addc_co_u32_e32 v3, vcc, v3, v10, vcc
	global_load_dword v15, v[2:3], off
	v_add_co_u32_e32 v2, vcc, s16, v2
	v_addc_co_u32_e32 v3, vcc, v3, v10, vcc
	global_load_dword v18, v[2:3], off
	global_load_dword v33, v49, s[0:1] offset:504
	global_load_dword v34, v49, s[0:1] offset:396
	;; [unrolled: 1-line block ×3, first 2 shown]
	v_add_co_u32_e32 v2, vcc, s16, v2
	v_addc_co_u32_e32 v3, vcc, v3, v10, vcc
	global_load_dword v19, v[2:3], off
	ds_write_b32 v32, v7 offset:216
	v_mov_b32_e32 v7, s15
	v_add_co_u32_e32 v2, vcc, s16, v2
	v_addc_co_u32_e32 v3, vcc, v3, v7, vcc
	global_load_dword v2, v[2:3], off
	s_waitcnt vmcnt(16)
	v_lshrrev_b32_e32 v3, 16, v13
	v_mul_f16_sdwa v7, v45, v3 dst_sel:DWORD dst_unused:UNUSED_PAD src0_sel:WORD_1 src1_sel:DWORD
	v_mul_f16_sdwa v10, v45, v13 dst_sel:DWORD dst_unused:UNUSED_PAD src0_sel:WORD_1 src1_sel:DWORD
	v_fma_f16 v7, v45, v13, v7
	v_fma_f16 v3, v45, v3, -v10
	v_pack_b32_f16 v3, v7, v3
	ds_write_b32 v32, v3 offset:324
	s_waitcnt vmcnt(15)
	v_lshrrev_b32_e32 v3, 16, v14
	v_mul_f16_sdwa v7, v44, v3 dst_sel:DWORD dst_unused:UNUSED_PAD src0_sel:WORD_1 src1_sel:DWORD
	v_mul_f16_sdwa v10, v44, v14 dst_sel:DWORD dst_unused:UNUSED_PAD src0_sel:WORD_1 src1_sel:DWORD
	v_fma_f16 v7, v44, v14, v7
	v_fma_f16 v3, v44, v3, -v10
	v_pack_b32_f16 v3, v7, v3
	ds_write_b32 v32, v3 offset:432
	s_waitcnt vmcnt(14)
	v_lshrrev_b32_e32 v3, 16, v4
	v_mul_f16_sdwa v11, v43, v3 dst_sel:DWORD dst_unused:UNUSED_PAD src0_sel:WORD_1 src1_sel:DWORD
	v_fma_f16 v11, v43, v4, v11
	v_mul_f16_sdwa v4, v43, v4 dst_sel:DWORD dst_unused:UNUSED_PAD src0_sel:WORD_1 src1_sel:DWORD
	v_fma_f16 v3, v43, v3, -v4
	v_pack_b32_f16 v3, v11, v3
	ds_write2_b32 v32, v9, v3 offset1:9
	s_waitcnt vmcnt(13)
	v_lshrrev_b32_e32 v3, 16, v5
	v_mul_f16_sdwa v4, v42, v3 dst_sel:DWORD dst_unused:UNUSED_PAD src0_sel:WORD_1 src1_sel:DWORD
	v_fma_f16 v4, v42, v5, v4
	v_mul_f16_sdwa v5, v42, v5 dst_sel:DWORD dst_unused:UNUSED_PAD src0_sel:WORD_1 src1_sel:DWORD
	v_fma_f16 v3, v42, v3, -v5
	v_pack_b32_f16 v3, v4, v3
	v_add_co_u32_e32 v10, vcc, 9, v48
	s_movk_i32 s17, 0x3b9c
	s_movk_i32 s15, 0x38b4
	;; [unrolled: 1-line block ×3, first 2 shown]
	v_addc_co_u32_e64 v7, s[12:13], 0, 0, vcc
	s_waitcnt vmcnt(12)
	v_lshrrev_b32_e32 v4, 16, v12
	v_mul_f16_sdwa v5, v40, v4 dst_sel:DWORD dst_unused:UNUSED_PAD src0_sel:WORD_1 src1_sel:DWORD
	v_mul_f16_sdwa v9, v40, v12 dst_sel:DWORD dst_unused:UNUSED_PAD src0_sel:WORD_1 src1_sel:DWORD
	v_fma_f16 v5, v40, v12, v5
	v_fma_f16 v4, v40, v4, -v9
	v_pack_b32_f16 v4, v5, v4
	s_waitcnt vmcnt(11)
	v_lshrrev_b32_e32 v5, 16, v16
	s_waitcnt vmcnt(10)
	v_mul_f16_sdwa v9, v41, v5 dst_sel:DWORD dst_unused:UNUSED_PAD src0_sel:WORD_1 src1_sel:DWORD
	v_mul_f16_sdwa v11, v41, v16 dst_sel:DWORD dst_unused:UNUSED_PAD src0_sel:WORD_1 src1_sel:DWORD
	v_fma_f16 v9, v41, v16, v9
	v_fma_f16 v5, v41, v5, -v11
	v_pack_b32_f16 v5, v9, v5
	s_waitcnt vmcnt(9)
	v_lshrrev_b32_e32 v9, 16, v17
	s_waitcnt vmcnt(8)
	v_mul_f16_sdwa v12, v39, v17 dst_sel:DWORD dst_unused:UNUSED_PAD src0_sel:WORD_1 src1_sel:DWORD
	v_mul_f16_sdwa v11, v39, v9 dst_sel:DWORD dst_unused:UNUSED_PAD src0_sel:WORD_1 src1_sel:DWORD
	v_fma_f16 v9, v39, v9, -v12
	v_fma_f16 v11, v39, v17, v11
	v_pack_b32_f16 v9, v11, v9
	v_mul_u32_u24_e32 v16, 5, v10
	v_lshl_add_u32 v50, v16, 2, v6
	s_waitcnt vmcnt(7)
	v_lshrrev_b32_e32 v12, 16, v8
	v_mul_f16_sdwa v13, v38, v12 dst_sel:DWORD dst_unused:UNUSED_PAD src0_sel:WORD_1 src1_sel:DWORD
	v_fma_f16 v13, v38, v8, v13
	v_mul_f16_sdwa v8, v38, v8 dst_sel:DWORD dst_unused:UNUSED_PAD src0_sel:WORD_1 src1_sel:DWORD
	v_fma_f16 v8, v38, v12, -v8
	v_pack_b32_f16 v8, v13, v8
	ds_write_b32 v32, v8 offset:72
	s_waitcnt vmcnt(6)
	v_lshrrev_b32_e32 v8, 16, v15
	v_mul_f16_sdwa v12, v36, v8 dst_sel:DWORD dst_unused:UNUSED_PAD src0_sel:WORD_1 src1_sel:DWORD
	v_mul_f16_sdwa v13, v36, v15 dst_sel:DWORD dst_unused:UNUSED_PAD src0_sel:WORD_1 src1_sel:DWORD
	v_fma_f16 v12, v36, v15, v12
	v_fma_f16 v8, v36, v8, -v13
	v_pack_b32_f16 v8, v12, v8
	ds_write2_b32 v32, v3, v8 offset0:36 offset1:45
	s_waitcnt vmcnt(5)
	v_lshrrev_b32_e32 v3, 16, v18
	s_waitcnt vmcnt(2)
	v_mul_f16_sdwa v8, v37, v3 dst_sel:DWORD dst_unused:UNUSED_PAD src0_sel:WORD_1 src1_sel:DWORD
	v_mul_f16_sdwa v12, v37, v18 dst_sel:DWORD dst_unused:UNUSED_PAD src0_sel:WORD_1 src1_sel:DWORD
	v_fma_f16 v8, v37, v18, v8
	v_fma_f16 v3, v37, v3, -v12
	v_pack_b32_f16 v3, v8, v3
	ds_write2_b32 v32, v4, v3 offset0:63 offset1:72
	s_waitcnt vmcnt(1)
	v_lshrrev_b32_e32 v3, 16, v19
	v_mul_f16_sdwa v4, v34, v3 dst_sel:DWORD dst_unused:UNUSED_PAD src0_sel:WORD_1 src1_sel:DWORD
	v_mul_f16_sdwa v8, v34, v19 dst_sel:DWORD dst_unused:UNUSED_PAD src0_sel:WORD_1 src1_sel:DWORD
	v_fma_f16 v4, v34, v19, v4
	v_fma_f16 v3, v34, v3, -v8
	v_pack_b32_f16 v3, v4, v3
	ds_write2_b32 v32, v5, v3 offset0:90 offset1:99
	s_waitcnt vmcnt(0)
	v_lshrrev_b32_e32 v3, 16, v2
	v_mul_f16_sdwa v4, v33, v3 dst_sel:DWORD dst_unused:UNUSED_PAD src0_sel:WORD_1 src1_sel:DWORD
	v_fma_f16 v4, v33, v2, v4
	v_mul_f16_sdwa v2, v33, v2 dst_sel:DWORD dst_unused:UNUSED_PAD src0_sel:WORD_1 src1_sel:DWORD
	v_fma_f16 v2, v33, v3, -v2
	v_pack_b32_f16 v2, v4, v2
	ds_write2_b32 v32, v9, v2 offset0:117 offset1:126
	v_mul_lo_u16_e32 v2, 5, v48
	s_waitcnt lgkmcnt(0)
	s_barrier
	v_lshl_add_u32 v52, v2, 2, v6
	ds_read2_b32 v[2:3], v32 offset1:9
	ds_read2_b32 v[4:5], v32 offset0:36 offset1:45
	ds_read2_b32 v[8:9], v32 offset0:54 offset1:63
	;; [unrolled: 1-line block ×4, first 2 shown]
	v_add_co_u32_e32 v11, vcc, 18, v48
	s_waitcnt lgkmcnt(3)
	v_pk_add_f16 v16, v3, v4
	s_waitcnt lgkmcnt(2)
	v_pk_add_f16 v16, v16, v9
	;; [unrolled: 2-line block ×4, first 2 shown]
	v_pk_add_f16 v16, v9, v12
	v_pk_add_f16 v18, v4, v15 neg_lo:[0,1] neg_hi:[0,1]
	v_pk_fma_f16 v16, v16, 0.5, v3 op_sel_hi:[1,0,1] neg_lo:[1,0,0] neg_hi:[1,0,0]
	v_pk_mul_f16 v19, v18, s17 op_sel_hi:[1,0]
	v_pk_add_f16 v20, v9, v12 neg_lo:[0,1] neg_hi:[0,1]
	v_pk_add_f16 v22, v4, v9 neg_lo:[0,1] neg_hi:[0,1]
	;; [unrolled: 1-line block ×3, first 2 shown]
	v_pk_mul_f16 v21, v20, s15 op_sel_hi:[1,0]
	v_pk_add_f16 v22, v22, v23
	v_pk_add_f16 v23, v16, v19 op_sel:[0,1] op_sel_hi:[1,0]
	v_pk_add_f16 v16, v16, v19 op_sel:[0,1] op_sel_hi:[1,0] neg_lo:[0,1] neg_hi:[0,1]
	v_pk_add_f16 v19, v23, v21 op_sel:[0,1] op_sel_hi:[1,0]
	v_pk_add_f16 v23, v4, v15
	v_pk_add_f16 v4, v9, v4 neg_lo:[0,1] neg_hi:[0,1]
	v_pk_add_f16 v9, v12, v15 neg_lo:[0,1] neg_hi:[0,1]
	v_pk_fma_f16 v3, v23, 0.5, v3 op_sel_hi:[1,0,1] neg_lo:[1,0,0] neg_hi:[1,0,0]
	v_pk_add_f16 v4, v4, v9
	v_pk_mul_f16 v9, v20, s17 op_sel_hi:[1,0]
	v_pk_mul_f16 v12, v18, s15 op_sel_hi:[1,0]
	v_pk_add_f16 v15, v3, v9 op_sel:[0,1] op_sel_hi:[1,0] neg_lo:[0,1] neg_hi:[0,1]
	v_pk_add_f16 v3, v3, v9 op_sel:[0,1] op_sel_hi:[1,0]
	v_pk_add_f16 v9, v15, v12 op_sel:[0,1] op_sel_hi:[1,0]
	v_pk_add_f16 v3, v3, v12 op_sel:[0,1] op_sel_hi:[1,0] neg_lo:[0,1] neg_hi:[0,1]
	v_pk_add_f16 v16, v16, v21 op_sel:[0,1] op_sel_hi:[1,0] neg_lo:[0,1] neg_hi:[0,1]
	v_bfi_b32 v12, s14, v9, v3
	v_bfi_b32 v3, s14, v3, v9
	v_pk_fma_f16 v9, v4, s16, v3 op_sel_hi:[1,0,1]
	v_bfi_b32 v3, s14, v16, v19
	v_bfi_b32 v21, s14, v19, v16
	v_pk_fma_f16 v12, v4, s16, v12 op_sel_hi:[1,0,1]
	v_pk_fma_f16 v18, v22, s16, v3 op_sel_hi:[1,0,1]
	ds_read2_b32 v[3:4], v32 offset0:18 offset1:27
	ds_read2_b32 v[15:16], v32 offset0:72 offset1:81
	v_pk_fma_f16 v21, v22, s16, v21 op_sel_hi:[1,0,1]
	ds_read_b32 v20, v32 offset:504
	s_waitcnt lgkmcnt(0)
	v_pk_add_f16 v24, v4, v14 neg_lo:[0,1] neg_hi:[0,1]
	v_pk_add_f16 v23, v8, v16
	v_pk_fma_f16 v23, v23, 0.5, v2 op_sel_hi:[1,0,1] neg_lo:[1,0,0] neg_hi:[1,0,0]
	v_pk_mul_f16 v25, v24, s17 op_sel_hi:[1,0]
	v_pk_add_f16 v26, v8, v16 neg_lo:[0,1] neg_hi:[0,1]
	v_pk_add_f16 v28, v4, v8 neg_lo:[0,1] neg_hi:[0,1]
	;; [unrolled: 1-line block ×3, first 2 shown]
	v_pk_add_f16 v22, v2, v4
	v_pk_mul_f16 v27, v26, s15 op_sel_hi:[1,0]
	v_pk_add_f16 v28, v28, v29
	v_pk_add_f16 v29, v23, v25 op_sel:[0,1] op_sel_hi:[1,0]
	v_pk_add_f16 v23, v23, v25 op_sel:[0,1] op_sel_hi:[1,0] neg_lo:[0,1] neg_hi:[0,1]
	v_pk_add_f16 v22, v22, v8
	v_pk_add_f16 v25, v29, v27 op_sel:[0,1] op_sel_hi:[1,0]
	v_pk_add_f16 v23, v23, v27 op_sel:[0,1] op_sel_hi:[1,0] neg_lo:[0,1] neg_hi:[0,1]
	v_pk_add_f16 v22, v22, v16
	v_bfi_b32 v27, s14, v25, v23
	v_pk_add_f16 v22, v22, v14
	v_pk_fma_f16 v27, v28, s16, v27 op_sel_hi:[1,0,1]
	s_barrier
	ds_write2_b32 v52, v22, v27 offset1:1
	v_pk_add_f16 v22, v4, v14
	v_pk_add_f16 v4, v8, v4 neg_lo:[0,1] neg_hi:[0,1]
	v_pk_add_f16 v8, v16, v14 neg_lo:[0,1] neg_hi:[0,1]
	v_pk_fma_f16 v2, v22, 0.5, v2 op_sel_hi:[1,0,1] neg_lo:[1,0,0] neg_hi:[1,0,0]
	v_pk_add_f16 v4, v4, v8
	v_pk_mul_f16 v8, v26, s17 op_sel_hi:[1,0]
	v_pk_mul_f16 v14, v24, s15 op_sel_hi:[1,0]
	v_pk_add_f16 v16, v2, v8 op_sel:[0,1] op_sel_hi:[1,0] neg_lo:[0,1] neg_hi:[0,1]
	v_pk_add_f16 v2, v2, v8 op_sel:[0,1] op_sel_hi:[1,0]
	v_pk_add_f16 v8, v16, v14 op_sel:[0,1] op_sel_hi:[1,0]
	v_pk_add_f16 v2, v2, v14 op_sel:[0,1] op_sel_hi:[1,0] neg_lo:[0,1] neg_hi:[0,1]
	v_bfi_b32 v14, s14, v8, v2
	v_bfi_b32 v2, s14, v2, v8
	v_pk_fma_f16 v14, v4, s16, v14 op_sel_hi:[1,0,1]
	v_pk_fma_f16 v2, v4, s16, v2 op_sel_hi:[1,0,1]
	ds_write2_b32 v52, v14, v2 offset0:2 offset1:3
	v_bfi_b32 v2, s14, v23, v25
	v_pk_fma_f16 v2, v28, s16, v2 op_sel_hi:[1,0,1]
	ds_write_b32 v52, v2 offset:16
	ds_write2_b32 v50, v17, v21 offset1:1
	ds_write2_b32 v50, v12, v9 offset0:2 offset1:3
	ds_write_b32 v50, v18 offset:16
	v_pk_add_f16 v2, v15, v13
	v_pk_add_f16 v4, v5, v20 neg_lo:[0,1] neg_hi:[0,1]
	v_mul_u32_u24_e32 v19, 5, v11
	v_pk_fma_f16 v2, v2, 0.5, v3 op_sel_hi:[1,0,1] neg_lo:[1,0,0] neg_hi:[1,0,0]
	v_pk_mul_f16 v8, v4, s17 op_sel_hi:[1,0]
	v_pk_add_f16 v9, v15, v13 neg_lo:[0,1] neg_hi:[0,1]
	v_pk_add_f16 v14, v5, v15 neg_lo:[0,1] neg_hi:[0,1]
	;; [unrolled: 1-line block ×3, first 2 shown]
	v_lshl_add_u32 v51, v19, 2, v6
	v_pk_add_f16 v19, v3, v5
	v_pk_mul_f16 v12, v9, s15 op_sel_hi:[1,0]
	v_pk_add_f16 v14, v14, v16
	v_pk_add_f16 v16, v2, v8 op_sel:[0,1] op_sel_hi:[1,0]
	v_pk_add_f16 v2, v2, v8 op_sel:[0,1] op_sel_hi:[1,0] neg_lo:[0,1] neg_hi:[0,1]
	v_pk_add_f16 v19, v19, v15
	v_pk_add_f16 v8, v16, v12 op_sel:[0,1] op_sel_hi:[1,0]
	v_pk_add_f16 v2, v2, v12 op_sel:[0,1] op_sel_hi:[1,0] neg_lo:[0,1] neg_hi:[0,1]
	v_pk_add_f16 v19, v19, v13
	v_bfi_b32 v12, s14, v8, v2
	v_pk_add_f16 v19, v19, v20
	v_pk_fma_f16 v12, v14, s16, v12 op_sel_hi:[1,0,1]
	ds_write2_b32 v51, v19, v12 offset1:1
	v_pk_add_f16 v12, v5, v20
	v_pk_fma_f16 v3, v12, 0.5, v3 op_sel_hi:[1,0,1] neg_lo:[1,0,0] neg_hi:[1,0,0]
	v_pk_add_f16 v5, v15, v5 neg_lo:[0,1] neg_hi:[0,1]
	v_pk_add_f16 v12, v13, v20 neg_lo:[0,1] neg_hi:[0,1]
	v_pk_mul_f16 v9, v9, s17 op_sel_hi:[1,0]
	v_pk_add_f16 v5, v5, v12
	v_pk_mul_f16 v4, v4, s15 op_sel_hi:[1,0]
	v_pk_add_f16 v12, v3, v9 op_sel:[0,1] op_sel_hi:[1,0] neg_lo:[0,1] neg_hi:[0,1]
	v_pk_add_f16 v3, v3, v9 op_sel:[0,1] op_sel_hi:[1,0]
	v_pk_add_f16 v9, v12, v4 op_sel:[0,1] op_sel_hi:[1,0]
	v_pk_add_f16 v3, v3, v4 op_sel:[0,1] op_sel_hi:[1,0] neg_lo:[0,1] neg_hi:[0,1]
	v_bfi_b32 v2, s14, v2, v8
	v_bfi_b32 v4, s14, v9, v3
	;; [unrolled: 1-line block ×3, first 2 shown]
	v_pk_fma_f16 v2, v14, s16, v2 op_sel_hi:[1,0,1]
	v_pk_fma_f16 v4, v5, s16, v4 op_sel_hi:[1,0,1]
	;; [unrolled: 1-line block ×3, first 2 shown]
	ds_write_b32 v51, v2 offset:16
	v_add_co_u32_e32 v2, vcc, -5, v48
	ds_write2_b32 v51, v4, v3 offset0:2 offset1:3
	v_addc_co_u32_e64 v3, s[12:13], 0, -1, vcc
	v_cmp_gt_u16_e32 vcc, 5, v48
	v_cndmask_b32_e64 v16, v3, 0, vcc
	v_cndmask_b32_e32 v15, v2, v48, vcc
	v_lshlrev_b64 v[2:3], 3, v[15:16]
	v_mov_b32_e32 v14, s3
	v_add_co_u32_e32 v2, vcc, s2, v2
	v_addc_co_u32_e32 v3, vcc, v14, v3, vcc
	s_waitcnt lgkmcnt(0)
	s_barrier
	global_load_dwordx2 v[2:3], v[2:3], off
	s_movk_i32 s12, 0xcd
	v_mul_lo_u16_sdwa v4, v10, s12 dst_sel:DWORD dst_unused:UNUSED_PAD src0_sel:BYTE_0 src1_sel:DWORD
	v_lshrrev_b16_e32 v23, 10, v4
	v_mul_lo_u16_e32 v4, 5, v23
	v_mul_lo_u16_sdwa v8, v11, s12 dst_sel:DWORD dst_unused:UNUSED_PAD src0_sel:BYTE_0 src1_sel:DWORD
	v_sub_u16_e32 v31, v10, v4
	v_lshrrev_b16_e32 v53, 10, v8
	v_lshlrev_b16_e32 v4, 1, v31
	v_mul_lo_u16_e32 v8, 5, v53
	v_and_b32_e32 v4, 0xfe, v4
	v_sub_u16_e32 v54, v11, v8
	v_lshlrev_b32_e32 v4, 2, v4
	v_lshlrev_b16_e32 v8, 1, v54
	global_load_dwordx2 v[4:5], v4, s[2:3]
	v_add_co_u32_e32 v16, vcc, 27, v48
	v_and_b32_e32 v8, 0xfe, v8
	v_lshlrev_b32_e32 v28, 2, v8
	v_mul_lo_u16_sdwa v8, v16, s12 dst_sel:DWORD dst_unused:UNUSED_PAD src0_sel:BYTE_0 src1_sel:DWORD
	ds_read2_b32 v[17:18], v32 offset1:9
	ds_read2_b32 v[19:20], v32 offset0:36 offset1:45
	ds_read2_b32 v[21:22], v32 offset0:90 offset1:99
	v_lshrrev_b16_e32 v55, 10, v8
	v_mul_lo_u16_e32 v8, 5, v55
	v_sub_u16_e32 v57, v16, v8
	v_lshlrev_b16_e32 v8, 1, v57
	s_waitcnt lgkmcnt(1)
	v_lshrrev_b32_e32 v26, 16, v20
	v_and_b32_e32 v8, 0xfe, v8
	v_lshlrev_b32_e32 v29, 2, v8
	global_load_dwordx2 v[8:9], v28, s[2:3]
	global_load_dwordx2 v[12:13], v29, s[2:3]
	s_waitcnt lgkmcnt(0)
	v_lshrrev_b32_e32 v27, 16, v21
	v_add_co_u32_e32 v24, vcc, 36, v48
	v_cmp_lt_u16_e32 vcc, 4, v48
	v_lshrrev_b32_e32 v25, 16, v17
	s_mov_b32 s13, 0xbaee
	ds_read_b32 v67, v32 offset:504
	s_waitcnt vmcnt(3)
	v_mul_f16_sdwa v28, v26, v2 dst_sel:DWORD dst_unused:UNUSED_PAD src0_sel:DWORD src1_sel:WORD_1
	v_fma_f16 v28, v20, v2, -v28
	v_mul_f16_sdwa v20, v20, v2 dst_sel:DWORD dst_unused:UNUSED_PAD src0_sel:DWORD src1_sel:WORD_1
	v_fma_f16 v20, v26, v2, v20
	v_mul_f16_sdwa v26, v27, v3 dst_sel:DWORD dst_unused:UNUSED_PAD src0_sel:DWORD src1_sel:WORD_1
	v_fma_f16 v26, v21, v3, -v26
	v_mul_f16_sdwa v21, v21, v3 dst_sel:DWORD dst_unused:UNUSED_PAD src0_sel:DWORD src1_sel:WORD_1
	v_fma_f16 v21, v27, v3, v21
	v_mul_lo_u16_sdwa v27, v24, s12 dst_sel:DWORD dst_unused:UNUSED_PAD src0_sel:BYTE_0 src1_sel:DWORD
	v_lshrrev_b16_e32 v61, 10, v27
	v_cndmask_b32_e64 v27, 0, 15, vcc
	v_add_u32_e32 v15, v15, v27
	v_sub_f16_e32 v58, v20, v21
	v_add_f16_e32 v27, v25, v20
	v_add_f16_e32 v20, v20, v21
	;; [unrolled: 1-line block ×4, first 2 shown]
	v_fma_f16 v62, v20, -0.5, v25
	v_add_f16_e32 v20, v28, v26
	v_add_f16_e32 v21, v21, v26
	v_fma_f16 v17, v20, -0.5, v17
	s_movk_i32 s12, 0x3aee
	v_sub_f16_e32 v63, v28, v26
	v_fma_f16 v20, v58, s12, v17
	v_pack_b32_f16 v64, v21, v27
	v_fma_f16 v21, v63, s13, v62
	v_pack_b32_f16 v65, v20, v21
	v_mul_lo_u16_e32 v20, 5, v61
	v_sub_u16_e32 v66, v24, v20
	v_lshlrev_b16_e32 v20, 1, v66
	v_and_b32_e32 v20, 0xfe, v20
	v_lshlrev_b32_e32 v20, 2, v20
	global_load_dwordx2 v[20:21], v20, s[2:3]
	v_lshl_add_u32 v56, v15, 2, v6
	v_lshrrev_b32_e32 v15, 16, v22
	ds_read2_b32 v[25:26], v32 offset0:54 offset1:63
	ds_read2_b32 v[27:28], v32 offset0:18 offset1:27
	;; [unrolled: 1-line block ×4, first 2 shown]
	s_waitcnt vmcnt(0) lgkmcnt(0)
	s_barrier
	ds_write2_b32 v56, v64, v65 offset1:5
	v_mul_f16_sdwa v64, v15, v5 dst_sel:DWORD dst_unused:UNUSED_PAD src0_sel:DWORD src1_sel:WORD_1
	v_fma_f16 v64, v22, v5, -v64
	v_mul_f16_sdwa v22, v22, v5 dst_sel:DWORD dst_unused:UNUSED_PAD src0_sel:DWORD src1_sel:WORD_1
	v_fma_f16 v15, v15, v5, v22
	v_fma_f16 v17, v58, s13, v17
	;; [unrolled: 1-line block ×3, first 2 shown]
	v_lshrrev_b32_e32 v58, 16, v25
	v_mul_f16_sdwa v62, v25, v4 dst_sel:DWORD dst_unused:UNUSED_PAD src0_sel:DWORD src1_sel:WORD_1
	v_fma_f16 v62, v58, v4, v62
	v_mul_f16_sdwa v58, v58, v4 dst_sel:DWORD dst_unused:UNUSED_PAD src0_sel:DWORD src1_sel:WORD_1
	v_fma_f16 v25, v25, v4, -v58
	v_add_f16_e32 v58, v25, v64
	v_fma_f16 v63, v58, -0.5, v18
	v_lshrrev_b32_e32 v58, 16, v18
	v_add_f16_e32 v65, v58, v62
	v_add_f16_e32 v65, v65, v15
	v_sub_f16_e32 v68, v62, v15
	v_add_f16_e32 v15, v62, v15
	v_pack_b32_f16 v17, v17, v22
	v_add_f16_e32 v18, v18, v25
	v_fma_f16 v15, v15, -0.5, v58
	v_sub_f16_e32 v25, v25, v64
	ds_write_b32 v56, v17 offset:40
	v_mad_legacy_u16 v17, v23, 15, v31
	v_add_f16_e32 v18, v18, v64
	v_fma_f16 v22, v68, s12, v63
	v_fma_f16 v23, v25, s13, v15
	v_and_b32_e32 v17, 0xff, v17
	v_pack_b32_f16 v18, v18, v65
	v_pack_b32_f16 v22, v22, v23
	v_lshl_add_u32 v58, v17, 2, v6
	v_lshrrev_b32_e32 v17, 16, v26
	ds_write2_b32 v58, v18, v22 offset1:5
	v_mul_f16_sdwa v18, v17, v8 dst_sel:DWORD dst_unused:UNUSED_PAD src0_sel:DWORD src1_sel:WORD_1
	v_mul_f16_sdwa v22, v26, v8 dst_sel:DWORD dst_unused:UNUSED_PAD src0_sel:DWORD src1_sel:WORD_1
	v_fma_f16 v15, v25, s12, v15
	v_lshrrev_b32_e32 v23, 16, v29
	v_mul_f16_sdwa v25, v29, v9 dst_sel:DWORD dst_unused:UNUSED_PAD src0_sel:DWORD src1_sel:WORD_1
	v_fma_f16 v18, v26, v8, -v18
	v_fma_f16 v17, v17, v8, v22
	v_fma_f16 v25, v23, v9, v25
	v_lshrrev_b32_e32 v26, 16, v27
	v_mul_f16_sdwa v23, v23, v9 dst_sel:DWORD dst_unused:UNUSED_PAD src0_sel:DWORD src1_sel:WORD_1
	v_fma_f16 v22, v68, s13, v63
	v_add_f16_e32 v31, v26, v17
	v_sub_f16_e32 v62, v17, v25
	v_add_f16_e32 v17, v17, v25
	v_fma_f16 v23, v29, v9, -v23
	v_add_f16_e32 v31, v31, v25
	v_fma_f16 v17, v17, -0.5, v26
	v_add_f16_e32 v25, v27, v18
	v_add_f16_e32 v26, v18, v23
	v_pack_b32_f16 v15, v22, v15
	v_add_f16_e32 v25, v25, v23
	v_sub_f16_e32 v18, v18, v23
	ds_write_b32 v58, v15 offset:40
	v_mad_legacy_u16 v15, v53, 15, v54
	v_fma_f16 v23, v26, -0.5, v27
	v_pack_b32_f16 v22, v25, v31
	v_fma_f16 v25, v62, s12, v23
	v_fma_f16 v26, v18, s13, v17
	v_and_b32_e32 v15, 0xff, v15
	v_pack_b32_f16 v25, v25, v26
	v_lshl_add_u32 v54, v15, 2, v6
	ds_write2_b32 v54, v22, v25 offset1:5
	v_lshrrev_b32_e32 v15, 16, v30
	v_mul_f16_sdwa v25, v30, v13 dst_sel:DWORD dst_unused:UNUSED_PAD src0_sel:DWORD src1_sel:WORD_1
	v_mul_f16_sdwa v22, v15, v13 dst_sel:DWORD dst_unused:UNUSED_PAD src0_sel:DWORD src1_sel:WORD_1
	v_fma_f16 v15, v15, v13, v25
	v_lshrrev_b32_e32 v25, 16, v59
	v_mul_f16_sdwa v26, v59, v12 dst_sel:DWORD dst_unused:UNUSED_PAD src0_sel:DWORD src1_sel:WORD_1
	v_fma_f16 v26, v25, v12, v26
	v_mul_f16_sdwa v25, v25, v12 dst_sel:DWORD dst_unused:UNUSED_PAD src0_sel:DWORD src1_sel:WORD_1
	v_fma_f16 v22, v30, v13, -v22
	v_fma_f16 v25, v59, v12, -v25
	v_lshrrev_b32_e32 v27, 16, v60
	v_mul_f16_sdwa v30, v60, v20 dst_sel:DWORD dst_unused:UNUSED_PAD src0_sel:DWORD src1_sel:WORD_1
	v_mul_f16_sdwa v29, v27, v20 dst_sel:DWORD dst_unused:UNUSED_PAD src0_sel:DWORD src1_sel:WORD_1
	v_fma_f16 v27, v27, v20, v30
	v_lshrrev_b32_e32 v30, 16, v67
	v_mul_f16_sdwa v53, v67, v21 dst_sel:DWORD dst_unused:UNUSED_PAD src0_sel:DWORD src1_sel:WORD_1
	v_fma_f16 v17, v18, s12, v17
	v_add_f16_e32 v18, v25, v22
	v_mul_f16_sdwa v31, v30, v21 dst_sel:DWORD dst_unused:UNUSED_PAD src0_sel:DWORD src1_sel:WORD_1
	v_fma_f16 v30, v30, v21, v53
	v_fma_f16 v18, v18, -0.5, v28
	v_lshrrev_b32_e32 v53, 16, v28
	v_sub_f16_e32 v59, v26, v15
	v_fma_f16 v29, v60, v20, -v29
	v_fma_f16 v60, v59, s12, v18
	v_fma_f16 v18, v59, s13, v18
	v_add_f16_e32 v59, v53, v26
	v_fma_f16 v23, v62, s13, v23
	v_add_f16_e32 v28, v28, v25
	v_add_f16_e32 v62, v59, v15
	;; [unrolled: 1-line block ×3, first 2 shown]
	v_fma_f16 v31, v67, v21, -v31
	v_fma_f16 v15, v15, -0.5, v53
	v_add_f16_e32 v26, v28, v22
	v_sub_f16_e32 v22, v25, v22
	v_pack_b32_f16 v17, v23, v17
	v_fma_f16 v25, v22, s13, v15
	v_fma_f16 v15, v22, s12, v15
	v_add_f16_e32 v22, v29, v31
	ds_write_b32 v54, v17 offset:40
	v_mad_legacy_u16 v17, v55, 15, v57
	v_fma_f16 v22, v22, -0.5, v19
	v_lshrrev_b32_e32 v28, 16, v19
	v_sub_f16_e32 v53, v27, v30
	v_and_b32_e32 v17, 0xff, v17
	v_fma_f16 v63, v53, s12, v22
	v_fma_f16 v22, v53, s13, v22
	v_add_f16_e32 v53, v28, v27
	v_add_f16_e32 v27, v27, v30
	v_lshl_add_u32 v59, v17, 2, v6
	v_pack_b32_f16 v15, v18, v15
	v_add_f16_e32 v19, v19, v29
	v_fma_f16 v27, v27, -0.5, v28
	v_sub_f16_e32 v28, v29, v31
	ds_write_b32 v59, v15 offset:40
	v_mad_legacy_u16 v15, v61, 15, v66
	v_add_f16_e32 v53, v53, v30
	v_add_f16_e32 v19, v19, v31
	v_fma_f16 v29, v28, s13, v27
	v_pack_b32_f16 v17, v26, v62
	v_pack_b32_f16 v23, v60, v25
	v_and_b32_e32 v15, 0xff, v15
	v_fma_f16 v27, v28, s12, v27
	ds_write2_b32 v59, v17, v23 offset1:5
	v_lshl_add_u32 v60, v15, 2, v6
	v_pack_b32_f16 v15, v19, v53
	v_pack_b32_f16 v17, v63, v29
	ds_write2_b32 v60, v15, v17 offset1:5
	v_pack_b32_f16 v15, v22, v27
	v_lshlrev_b32_e32 v17, 3, v48
	ds_write_b32 v60, v15 offset:40
	s_waitcnt lgkmcnt(0)
	s_barrier
	global_load_dwordx2 v[18:19], v17, s[2:3] offset:40
	v_add_co_u32_e32 v15, vcc, -6, v48
	v_addc_co_u32_e64 v22, s[18:19], 0, -1, vcc
	v_cmp_gt_u16_e32 vcc, 6, v48
	v_cndmask_b32_e32 v26, v22, v7, vcc
	v_cndmask_b32_e32 v25, v15, v10, vcc
	v_lshlrev_b64 v[22:23], 3, v[25:26]
	s_movk_i32 s18, 0x89
	v_add_co_u32_e32 v22, vcc, s2, v22
	v_addc_co_u32_e32 v23, vcc, v14, v23, vcc
	global_load_dwordx2 v[28:29], v[22:23], off offset:40
	v_mul_lo_u16_sdwa v7, v16, s18 dst_sel:DWORD dst_unused:UNUSED_PAD src0_sel:BYTE_0 src1_sel:DWORD
	v_lshrrev_b16_e32 v7, 11, v7
	v_mul_lo_u16_e32 v15, 15, v7
	v_sub_u16_e32 v55, v16, v15
	v_mov_b32_e32 v15, 3
	v_lshlrev_b32_sdwa v15, v15, v55 dst_sel:DWORD dst_unused:UNUSED_PAD src0_sel:DWORD src1_sel:BYTE_0
	ds_read2_b32 v[61:62], v32 offset0:36 offset1:45
	global_load_dwordx2 v[22:23], v15, s[2:3] offset:40
	global_load_dwordx2 v[30:31], v17, s[2:3] offset:64
	v_mul_lo_u16_sdwa v15, v24, s18 dst_sel:DWORD dst_unused:UNUSED_PAD src0_sel:BYTE_0 src1_sel:DWORD
	v_lshrrev_b16_e32 v15, 11, v15
	v_mul_lo_u16_e32 v15, 15, v15
	v_sub_u16_e32 v57, v24, v15
	v_lshlrev_b16_e32 v15, 3, v57
	v_and_b32_e32 v15, 0xf8, v15
	v_add_co_u32_e32 v26, vcc, s2, v15
	v_addc_co_u32_e32 v27, vcc, 0, v14, vcc
	global_load_dwordx2 v[26:27], v[26:27], off offset:40
	ds_read2_b32 v[63:64], v32 offset0:90 offset1:99
	ds_read2_b32 v[14:15], v32 offset1:9
	s_waitcnt lgkmcnt(2)
	v_lshrrev_b32_e32 v53, 16, v62
	v_cmp_lt_u16_e32 vcc, 5, v48
	v_mul_u32_u24_e32 v7, 45, v7
	s_waitcnt lgkmcnt(1)
	v_lshrrev_b32_e32 v66, 16, v63
	s_waitcnt lgkmcnt(0)
	v_lshrrev_b32_e32 v68, 16, v14
	v_add_u32_sdwa v7, v7, v55 dst_sel:DWORD dst_unused:UNUSED_PAD src0_sel:DWORD src1_sel:BYTE_0
	v_lshlrev_b32_e32 v10, 3, v10
	v_lshlrev_b32_e32 v16, 3, v16
	;; [unrolled: 1-line block ×3, first 2 shown]
	s_waitcnt vmcnt(4)
	v_mul_f16_sdwa v65, v62, v18 dst_sel:DWORD dst_unused:UNUSED_PAD src0_sel:DWORD src1_sel:WORD_1
	v_fma_f16 v65, v53, v18, v65
	v_mul_f16_sdwa v67, v63, v19 dst_sel:DWORD dst_unused:UNUSED_PAD src0_sel:DWORD src1_sel:WORD_1
	v_mul_f16_sdwa v53, v53, v18 dst_sel:DWORD dst_unused:UNUSED_PAD src0_sel:DWORD src1_sel:WORD_1
	v_fma_f16 v67, v66, v19, v67
	v_fma_f16 v53, v62, v18, -v53
	v_mul_f16_sdwa v62, v66, v19 dst_sel:DWORD dst_unused:UNUSED_PAD src0_sel:DWORD src1_sel:WORD_1
	v_add_f16_e32 v69, v68, v65
	v_sub_f16_e32 v71, v65, v67
	v_add_f16_e32 v65, v65, v67
	v_fma_f16 v62, v63, v19, -v62
	v_fma_f16 v72, v65, -0.5, v68
	v_add_f16_e32 v63, v14, v53
	v_add_f16_e32 v65, v53, v62
	;; [unrolled: 1-line block ×4, first 2 shown]
	v_sub_f16_e32 v53, v53, v62
	v_fma_f16 v14, v65, -0.5, v14
	v_pack_b32_f16 v73, v63, v69
	v_fma_f16 v62, v71, s12, v14
	v_fma_f16 v63, v53, s13, v72
	v_pack_b32_f16 v74, v62, v63
	ds_read_b32 v75, v32 offset:504
	ds_read2_b32 v[62:63], v32 offset0:54 offset1:63
	ds_read2_b32 v[65:66], v32 offset0:18 offset1:27
	;; [unrolled: 1-line block ×4, first 2 shown]
	s_waitcnt vmcnt(0) lgkmcnt(0)
	s_barrier
	ds_write2_b32 v32, v73, v74 offset1:15
	v_cndmask_b32_e64 v73, 0, 45, vcc
	v_add_u32_e32 v25, v25, v73
	v_lshrrev_b32_e32 v73, 16, v64
	v_mul_f16_sdwa v74, v73, v29 dst_sel:DWORD dst_unused:UNUSED_PAD src0_sel:DWORD src1_sel:WORD_1
	v_fma_f16 v14, v71, s13, v14
	v_fma_f16 v53, v53, s12, v72
	v_lshrrev_b32_e32 v71, 16, v62
	v_mul_f16_sdwa v72, v62, v28 dst_sel:DWORD dst_unused:UNUSED_PAD src0_sel:DWORD src1_sel:WORD_1
	v_fma_f16 v74, v64, v29, -v74
	v_mul_f16_sdwa v64, v64, v29 dst_sel:DWORD dst_unused:UNUSED_PAD src0_sel:DWORD src1_sel:WORD_1
	v_fma_f16 v72, v71, v28, v72
	v_mul_f16_sdwa v71, v71, v28 dst_sel:DWORD dst_unused:UNUSED_PAD src0_sel:DWORD src1_sel:WORD_1
	v_fma_f16 v64, v73, v29, v64
	v_fma_f16 v62, v62, v28, -v71
	v_lshrrev_b32_e32 v73, 16, v15
	v_add_f16_e32 v71, v62, v74
	v_add_f16_e32 v76, v73, v72
	v_fma_f16 v71, v71, -0.5, v15
	v_add_f16_e32 v15, v15, v62
	v_add_f16_e32 v76, v76, v64
	v_sub_f16_e32 v77, v72, v64
	v_add_f16_e32 v64, v72, v64
	v_fma_f16 v64, v64, -0.5, v73
	v_add_f16_e32 v15, v15, v74
	v_sub_f16_e32 v62, v62, v74
	v_pack_b32_f16 v14, v14, v53
	ds_write_b32 v32, v14 offset:120
	v_pack_b32_f16 v14, v15, v76
	v_fma_f16 v15, v77, s12, v71
	v_fma_f16 v53, v62, s13, v64
	v_pack_b32_f16 v15, v15, v53
	v_lshl_add_u32 v53, v25, 2, v6
	ds_write2_b32 v53, v14, v15 offset1:15
	v_lshrrev_b32_e32 v14, 16, v63
	v_mul_f16_sdwa v15, v14, v30 dst_sel:DWORD dst_unused:UNUSED_PAD src0_sel:DWORD src1_sel:WORD_1
	v_fma_f16 v15, v63, v30, -v15
	v_mul_f16_sdwa v25, v63, v30 dst_sel:DWORD dst_unused:UNUSED_PAD src0_sel:DWORD src1_sel:WORD_1
	v_fma_f16 v62, v62, s12, v64
	v_lshrrev_b32_e32 v63, 16, v67
	v_mul_f16_sdwa v64, v67, v31 dst_sel:DWORD dst_unused:UNUSED_PAD src0_sel:DWORD src1_sel:WORD_1
	v_fma_f16 v14, v14, v30, v25
	v_fma_f16 v25, v77, s13, v71
	;; [unrolled: 1-line block ×3, first 2 shown]
	v_lshrrev_b32_e32 v71, 16, v65
	v_mul_f16_sdwa v63, v63, v31 dst_sel:DWORD dst_unused:UNUSED_PAD src0_sel:DWORD src1_sel:WORD_1
	v_add_f16_e32 v72, v71, v14
	v_fma_f16 v63, v67, v31, -v63
	v_add_f16_e32 v72, v72, v64
	v_sub_f16_e32 v73, v14, v64
	v_add_f16_e32 v14, v14, v64
	v_add_f16_e32 v64, v65, v15
	v_add_f16_e32 v67, v15, v63
	v_fma_f16 v14, v14, -0.5, v71
	v_add_f16_e32 v64, v64, v63
	v_sub_f16_e32 v15, v15, v63
	v_pack_b32_f16 v25, v25, v62
	v_fma_f16 v62, v67, -0.5, v65
	ds_write_b32 v53, v25 offset:120
	v_pack_b32_f16 v25, v64, v72
	v_fma_f16 v63, v73, s12, v62
	v_fma_f16 v64, v15, s13, v14
	v_pack_b32_f16 v63, v63, v64
	ds_write2_b32 v32, v25, v63 offset0:48 offset1:63
	v_lshrrev_b32_e32 v25, 16, v68
	v_mul_f16_sdwa v64, v68, v23 dst_sel:DWORD dst_unused:UNUSED_PAD src0_sel:DWORD src1_sel:WORD_1
	v_mul_f16_sdwa v63, v25, v23 dst_sel:DWORD dst_unused:UNUSED_PAD src0_sel:DWORD src1_sel:WORD_1
	v_fma_f16 v25, v25, v23, v64
	v_fma_f16 v14, v15, s12, v14
	v_lshrrev_b32_e32 v15, 16, v69
	v_mul_f16_sdwa v64, v69, v22 dst_sel:DWORD dst_unused:UNUSED_PAD src0_sel:DWORD src1_sel:WORD_1
	v_fma_f16 v64, v15, v22, v64
	v_mul_f16_sdwa v15, v15, v22 dst_sel:DWORD dst_unused:UNUSED_PAD src0_sel:DWORD src1_sel:WORD_1
	v_lshrrev_b32_e32 v67, 16, v66
	v_fma_f16 v63, v68, v23, -v63
	v_fma_f16 v15, v69, v22, -v15
	v_add_f16_e32 v68, v67, v64
	v_add_f16_e32 v65, v15, v63
	;; [unrolled: 1-line block ×3, first 2 shown]
	v_sub_f16_e32 v69, v64, v25
	v_add_f16_e32 v25, v64, v25
	v_fma_f16 v62, v73, s13, v62
	v_fma_f16 v65, v65, -0.5, v66
	v_add_f16_e32 v66, v66, v15
	v_fma_f16 v25, v25, -0.5, v67
	v_sub_f16_e32 v15, v15, v63
	v_add_f16_e32 v64, v66, v63
	v_pack_b32_f16 v14, v62, v14
	v_fma_f16 v55, v69, s12, v65
	v_fma_f16 v62, v15, s13, v25
	ds_write_b32 v32, v14 offset:312
	v_pack_b32_f16 v14, v64, v68
	v_pack_b32_f16 v62, v55, v62
	v_lshl_add_u32 v55, v7, 2, v6
	ds_write2_b32 v55, v14, v62 offset1:15
	v_lshrrev_b32_e32 v7, 16, v70
	v_mul_f16_sdwa v62, v70, v26 dst_sel:DWORD dst_unused:UNUSED_PAD src0_sel:DWORD src1_sel:WORD_1
	v_mul_f16_sdwa v14, v7, v26 dst_sel:DWORD dst_unused:UNUSED_PAD src0_sel:DWORD src1_sel:WORD_1
	v_fma_f16 v7, v7, v26, v62
	v_lshrrev_b32_e32 v62, 16, v75
	v_mul_f16_sdwa v63, v62, v27 dst_sel:DWORD dst_unused:UNUSED_PAD src0_sel:DWORD src1_sel:WORD_1
	v_fma_f16 v14, v70, v26, -v14
	v_fma_f16 v63, v75, v27, -v63
	v_mul_f16_sdwa v64, v75, v27 dst_sel:DWORD dst_unused:UNUSED_PAD src0_sel:DWORD src1_sel:WORD_1
	v_fma_f16 v62, v62, v27, v64
	v_fma_f16 v64, v69, s13, v65
	;; [unrolled: 1-line block ×3, first 2 shown]
	v_add_f16_e32 v25, v14, v63
	v_lshrrev_b32_e32 v65, 16, v61
	v_fma_f16 v25, v25, -0.5, v61
	v_add_f16_e32 v61, v61, v14
	v_add_f16_e32 v66, v65, v7
	v_sub_f16_e32 v67, v7, v62
	v_add_f16_e32 v7, v7, v62
	v_pack_b32_f16 v15, v64, v15
	v_add_f16_e32 v66, v66, v62
	v_fma_f16 v7, v7, -0.5, v65
	v_add_f16_e32 v61, v61, v63
	v_sub_f16_e32 v14, v14, v63
	ds_write_b32 v55, v15 offset:120
	v_and_b32_e32 v15, 0xff, v57
	v_lshl_add_u32 v57, v15, 2, v6
	v_pack_b32_f16 v6, v61, v66
	v_fma_f16 v15, v67, s12, v25
	v_fma_f16 v61, v14, s13, v7
	v_pack_b32_f16 v15, v15, v61
	ds_write2_b32 v57, v6, v15 offset0:90 offset1:105
	v_fma_f16 v6, v67, s13, v25
	v_fma_f16 v7, v14, s12, v7
	v_pack_b32_f16 v6, v6, v7
	ds_write_b32 v57, v6 offset:480
	s_waitcnt lgkmcnt(0)
	s_barrier
	global_load_dwordx2 v[6:7], v17, s[2:3] offset:160
	global_load_dwordx2 v[14:15], v10, s[2:3] offset:160
	ds_read2_b32 v[61:62], v32 offset0:90 offset1:99
	global_load_dwordx2 v[16:17], v16, s[2:3] offset:160
	v_lshlrev_b32_e32 v10, 3, v11
	global_load_dwordx2 v[10:11], v10, s[2:3] offset:160
	s_waitcnt lgkmcnt(0)
	v_lshrrev_b32_e32 v25, 16, v61
	s_waitcnt vmcnt(3)
	v_mul_f16_sdwa v63, v61, v7 dst_sel:DWORD dst_unused:UNUSED_PAD src0_sel:DWORD src1_sel:WORD_1
	v_fma_f16 v65, v25, v7, v63
	v_mul_f16_sdwa v25, v25, v7 dst_sel:DWORD dst_unused:UNUSED_PAD src0_sel:DWORD src1_sel:WORD_1
	ds_read2_b32 v[63:64], v32 offset0:36 offset1:45
	v_fma_f16 v25, v61, v7, -v25
	v_lshrrev_b32_e32 v61, 16, v62
	s_waitcnt vmcnt(2)
	v_mul_f16_sdwa v66, v61, v15 dst_sel:DWORD dst_unused:UNUSED_PAD src0_sel:DWORD src1_sel:WORD_1
	v_fma_f16 v70, v62, v15, -v66
	v_mul_f16_sdwa v62, v62, v15 dst_sel:DWORD dst_unused:UNUSED_PAD src0_sel:DWORD src1_sel:WORD_1
	v_fma_f16 v71, v61, v15, v62
	ds_read2_b32 v[61:62], v32 offset1:9
	s_waitcnt lgkmcnt(1)
	v_lshrrev_b32_e32 v66, 16, v64
	v_mul_f16_sdwa v67, v64, v6 dst_sel:DWORD dst_unused:UNUSED_PAD src0_sel:DWORD src1_sel:WORD_1
	v_fma_f16 v67, v66, v6, v67
	v_mul_f16_sdwa v66, v66, v6 dst_sel:DWORD dst_unused:UNUSED_PAD src0_sel:DWORD src1_sel:WORD_1
	v_fma_f16 v66, v64, v6, -v66
	v_add_f16_e32 v64, v66, v25
	s_waitcnt lgkmcnt(0)
	v_fma_f16 v64, v64, -0.5, v61
	v_sub_f16_e32 v68, v67, v65
	v_fma_f16 v69, v68, s12, v64
	v_fma_f16 v72, v68, s13, v64
	v_lshrrev_b32_e32 v64, 16, v61
	v_add_f16_e32 v68, v64, v67
	v_add_f16_e32 v68, v68, v65
	;; [unrolled: 1-line block ×3, first 2 shown]
	v_fma_f16 v67, v65, -0.5, v64
	ds_read2_b32 v[64:65], v32 offset0:54 offset1:63
	v_add_f16_e32 v61, v61, v66
	v_add_f16_e32 v61, v61, v25
	v_sub_f16_e32 v25, v66, v25
	v_fma_f16 v66, v25, s13, v67
	v_fma_f16 v25, v25, s12, v67
	s_waitcnt lgkmcnt(0)
	v_lshrrev_b32_e32 v67, 16, v64
	v_mul_f16_sdwa v73, v64, v14 dst_sel:DWORD dst_unused:UNUSED_PAD src0_sel:DWORD src1_sel:WORD_1
	v_fma_f16 v73, v67, v14, v73
	v_mul_f16_sdwa v67, v67, v14 dst_sel:DWORD dst_unused:UNUSED_PAD src0_sel:DWORD src1_sel:WORD_1
	v_fma_f16 v64, v64, v14, -v67
	v_lshrrev_b32_e32 v75, 16, v62
	v_add_f16_e32 v67, v64, v70
	v_add_f16_e32 v76, v62, v64
	v_pack_b32_f16 v25, v72, v25
	v_add_f16_e32 v72, v75, v73
	v_fma_f16 v74, v67, -0.5, v62
	v_pack_b32_f16 v77, v61, v68
	v_pack_b32_f16 v78, v69, v66
	ds_read2_b32 v[61:62], v32 offset0:18 offset1:27
	ds_read2_b32 v[66:67], v32 offset0:108 offset1:117
	;; [unrolled: 1-line block ×3, first 2 shown]
	ds_write_b32 v32, v25 offset:360
	v_add_f16_e32 v25, v76, v70
	v_add_f16_e32 v72, v72, v71
	v_pack_b32_f16 v25, v25, v72
	ds_write_b32 v32, v78 offset:180
	ds_read_b32 v72, v32 offset:504
	ds_write2_b32 v32, v77, v25 offset1:9
	v_lshrrev_b32_e32 v25, 16, v65
	s_waitcnt vmcnt(0)
	v_mul_f16_sdwa v76, v25, v10 dst_sel:DWORD dst_unused:UNUSED_PAD src0_sel:DWORD src1_sel:WORD_1
	v_fma_f16 v76, v65, v10, -v76
	v_mul_f16_sdwa v65, v65, v10 dst_sel:DWORD dst_unused:UNUSED_PAD src0_sel:DWORD src1_sel:WORD_1
	v_fma_f16 v25, v25, v10, v65
	v_sub_f16_e32 v65, v73, v71
	v_add_f16_e32 v71, v73, v71
	v_fma_f16 v71, v71, -0.5, v75
	v_sub_f16_e32 v64, v64, v70
	v_fma_f16 v77, v65, s12, v74
	v_fma_f16 v65, v65, s13, v74
	v_fma_f16 v70, v64, s13, v71
	v_fma_f16 v64, v64, s12, v71
	v_pack_b32_f16 v64, v65, v64
	ds_write_b32 v32, v64 offset:396
	s_waitcnt lgkmcnt(6)
	v_lshrrev_b32_e32 v64, 16, v66
	v_mul_f16_sdwa v65, v66, v11 dst_sel:DWORD dst_unused:UNUSED_PAD src0_sel:DWORD src1_sel:WORD_1
	v_fma_f16 v65, v64, v11, v65
	v_mul_f16_sdwa v64, v64, v11 dst_sel:DWORD dst_unused:UNUSED_PAD src0_sel:DWORD src1_sel:WORD_1
	v_fma_f16 v64, v66, v11, -v64
	v_add_f16_e32 v66, v76, v64
	v_lshrrev_b32_e32 v71, 16, v61
	v_add_f16_e32 v73, v25, v65
	v_pack_b32_f16 v70, v77, v70
	v_fma_f16 v66, v66, -0.5, v61
	v_fma_f16 v73, v73, -0.5, v71
	v_sub_f16_e32 v74, v25, v65
	v_sub_f16_e32 v77, v76, v64
	v_fma_f16 v75, v74, s12, v66
	v_fma_f16 v78, v77, s13, v73
	v_pack_b32_f16 v75, v75, v78
	v_add_f16_e32 v61, v61, v76
	v_add_f16_e32 v25, v71, v25
	ds_write2_b32 v32, v70, v75 offset0:54 offset1:63
	v_lshrrev_b32_e32 v70, 16, v67
	v_add_f16_e32 v61, v61, v64
	v_add_f16_e32 v64, v25, v65
	s_waitcnt lgkmcnt(6)
	v_lshrrev_b32_e32 v25, 16, v68
	v_mul_f16_sdwa v65, v68, v16 dst_sel:DWORD dst_unused:UNUSED_PAD src0_sel:DWORD src1_sel:WORD_1
	v_mul_f16_sdwa v75, v70, v17 dst_sel:DWORD dst_unused:UNUSED_PAD src0_sel:DWORD src1_sel:WORD_1
	v_fma_f16 v65, v25, v16, v65
	v_mul_f16_sdwa v25, v25, v16 dst_sel:DWORD dst_unused:UNUSED_PAD src0_sel:DWORD src1_sel:WORD_1
	v_fma_f16 v75, v67, v17, -v75
	v_fma_f16 v68, v68, v16, -v25
	v_mul_f16_sdwa v67, v67, v17 dst_sel:DWORD dst_unused:UNUSED_PAD src0_sel:DWORD src1_sel:WORD_1
	v_add_f16_e32 v25, v68, v75
	v_fma_f16 v67, v70, v17, v67
	v_fma_f16 v70, v25, -0.5, v62
	global_load_dwordx2 v[24:25], v24, s[2:3] offset:160
	v_lshrrev_b32_e32 v71, 16, v62
	v_add_f16_e32 v62, v62, v68
	v_pack_b32_f16 v61, v61, v64
	v_add_f16_e32 v64, v71, v65
	v_add_f16_e32 v62, v62, v75
	;; [unrolled: 1-line block ×3, first 2 shown]
	v_pack_b32_f16 v62, v62, v64
	v_sub_f16_e32 v64, v65, v67
	v_add_f16_e32 v65, v65, v67
	ds_write2_b32 v32, v61, v62 offset0:18 offset1:27
	v_fma_f16 v61, v74, s13, v66
	v_fma_f16 v62, v77, s12, v73
	v_fma_f16 v65, v65, -0.5, v71
	v_sub_f16_e32 v66, v68, v75
	v_pack_b32_f16 v61, v61, v62
	v_fma_f16 v62, v64, s13, v70
	v_fma_f16 v67, v66, s12, v65
	v_pack_b32_f16 v62, v62, v67
	ds_write2_b32 v32, v61, v62 offset0:108 offset1:117
	v_lshrrev_b32_e32 v61, 16, v69
	v_fma_f16 v64, v64, s12, v70
	v_fma_f16 v65, v66, s13, v65
	v_pack_b32_f16 v64, v64, v65
	s_mov_b32 s2, 0xc901e574
	s_mov_b32 s3, 0x3f7e573a
	s_waitcnt vmcnt(0)
	v_mul_f16_sdwa v67, v69, v24 dst_sel:DWORD dst_unused:UNUSED_PAD src0_sel:DWORD src1_sel:WORD_1
	v_mul_f16_sdwa v62, v61, v24 dst_sel:DWORD dst_unused:UNUSED_PAD src0_sel:DWORD src1_sel:WORD_1
	v_fma_f16 v61, v61, v24, v67
	s_waitcnt lgkmcnt(5)
	v_lshrrev_b32_e32 v67, 16, v72
	v_fma_f16 v62, v69, v24, -v62
	v_mul_f16_sdwa v68, v67, v25 dst_sel:DWORD dst_unused:UNUSED_PAD src0_sel:DWORD src1_sel:WORD_1
	v_mul_f16_sdwa v69, v72, v25 dst_sel:DWORD dst_unused:UNUSED_PAD src0_sel:DWORD src1_sel:WORD_1
	v_fma_f16 v68, v72, v25, -v68
	v_fma_f16 v67, v67, v25, v69
	v_add_f16_e32 v66, v62, v68
	v_lshrrev_b32_e32 v69, 16, v63
	v_add_f16_e32 v65, v61, v67
	v_fma_f16 v66, v66, -0.5, v63
	v_add_f16_e32 v63, v63, v62
	v_fma_f16 v65, v65, -0.5, v69
	v_sub_f16_e32 v62, v62, v68
	v_sub_f16_e32 v70, v61, v67
	v_fma_f16 v71, v70, s12, v66
	v_fma_f16 v72, v62, s13, v65
	v_add_f16_e32 v61, v69, v61
	v_pack_b32_f16 v71, v71, v72
	v_add_f16_e32 v63, v63, v68
	v_add_f16_e32 v61, v61, v67
	ds_write2_b32 v32, v64, v71 offset0:72 offset1:81
	v_fma_f16 v64, v70, s13, v66
	v_fma_f16 v62, v62, s12, v65
	v_pack_b32_f16 v61, v63, v61
	ds_write_b32 v32, v61 offset:144
	v_pack_b32_f16 v61, v64, v62
	ds_write_b32 v32, v61 offset:504
	s_waitcnt lgkmcnt(0)
	s_barrier
	global_load_dword v63, v49, s[0:1] offset:540
	global_load_dword v64, v49, s[6:7] offset:36
	;; [unrolled: 1-line block ×11, first 2 shown]
	ds_read2_b32 v[61:62], v32 offset1:9
	global_load_dword v74, v49, s[6:7] offset:324
	global_load_dword v75, v49, s[6:7] offset:504
	global_load_dword v78, v49, s[6:7] offset:360
	s_waitcnt lgkmcnt(0)
	v_lshrrev_b32_e32 v76, 16, v61
	global_load_dword v49, v49, s[6:7] offset:396
	s_movk_i32 s6, 0x1ff
	s_movk_i32 s7, 0xffe
	s_waitcnt vmcnt(14)
	v_mul_f16_sdwa v77, v61, v63 dst_sel:DWORD dst_unused:UNUSED_PAD src0_sel:DWORD src1_sel:WORD_1
	v_fma_f16 v77, v76, v63, v77
	v_mul_f16_sdwa v76, v76, v63 dst_sel:DWORD dst_unused:UNUSED_PAD src0_sel:DWORD src1_sel:WORD_1
	v_fma_f16 v63, v61, v63, -v76
	v_lshrrev_b32_e32 v61, 16, v62
	s_waitcnt vmcnt(13)
	v_mul_f16_sdwa v76, v61, v64 dst_sel:DWORD dst_unused:UNUSED_PAD src0_sel:DWORD src1_sel:WORD_1
	v_fma_f16 v76, v62, v64, -v76
	v_mul_f16_sdwa v62, v62, v64 dst_sel:DWORD dst_unused:UNUSED_PAD src0_sel:DWORD src1_sel:WORD_1
	v_fma_f16 v64, v61, v64, v62
	ds_read2_b32 v[61:62], v32 offset0:54 offset1:63
	v_pack_b32_f16 v63, v63, v77
	v_pack_b32_f16 v64, v76, v64
	ds_write2_b32 v32, v63, v64 offset1:9
	s_waitcnt lgkmcnt(1)
	v_lshrrev_b32_e32 v63, 16, v61
	s_waitcnt vmcnt(11)
	v_mul_f16_sdwa v64, v61, v66 dst_sel:DWORD dst_unused:UNUSED_PAD src0_sel:DWORD src1_sel:WORD_1
	v_fma_f16 v64, v63, v66, v64
	v_mul_f16_sdwa v63, v63, v66 dst_sel:DWORD dst_unused:UNUSED_PAD src0_sel:DWORD src1_sel:WORD_1
	v_fma_f16 v63, v61, v66, -v63
	v_lshrrev_b32_e32 v66, 16, v62
	s_waitcnt vmcnt(10)
	v_mul_f16_sdwa v61, v66, v67 dst_sel:DWORD dst_unused:UNUSED_PAD src0_sel:DWORD src1_sel:WORD_1
	v_fma_f16 v76, v62, v67, -v61
	v_mul_f16_sdwa v77, v62, v67 dst_sel:DWORD dst_unused:UNUSED_PAD src0_sel:DWORD src1_sel:WORD_1
	ds_read2_b32 v[61:62], v32 offset0:108 offset1:117
	v_fma_f16 v66, v66, v67, v77
	v_pack_b32_f16 v63, v63, v64
	v_pack_b32_f16 v64, v76, v66
	ds_write2_b32 v32, v63, v64 offset0:54 offset1:63
	s_waitcnt lgkmcnt(1)
	v_lshrrev_b32_e32 v63, 16, v61
	s_waitcnt vmcnt(9)
	v_mul_f16_sdwa v64, v61, v68 dst_sel:DWORD dst_unused:UNUSED_PAD src0_sel:DWORD src1_sel:WORD_1
	v_fma_f16 v64, v63, v68, v64
	v_mul_f16_sdwa v63, v63, v68 dst_sel:DWORD dst_unused:UNUSED_PAD src0_sel:DWORD src1_sel:WORD_1
	v_lshrrev_b32_e32 v66, 16, v62
	v_fma_f16 v63, v61, v68, -v63
	s_waitcnt vmcnt(8)
	v_mul_f16_sdwa v61, v66, v69 dst_sel:DWORD dst_unused:UNUSED_PAD src0_sel:DWORD src1_sel:WORD_1
	v_fma_f16 v67, v62, v69, -v61
	v_mul_f16_sdwa v68, v62, v69 dst_sel:DWORD dst_unused:UNUSED_PAD src0_sel:DWORD src1_sel:WORD_1
	ds_read2_b32 v[61:62], v32 offset0:18 offset1:27
	v_fma_f16 v66, v66, v69, v68
	v_pack_b32_f16 v63, v63, v64
	v_pack_b32_f16 v64, v67, v66
	ds_write2_b32 v32, v63, v64 offset0:108 offset1:117
	s_waitcnt lgkmcnt(1)
	v_lshrrev_b32_e32 v63, 16, v62
	s_waitcnt vmcnt(6)
	v_mul_f16_sdwa v64, v62, v71 dst_sel:DWORD dst_unused:UNUSED_PAD src0_sel:DWORD src1_sel:WORD_1
	v_fma_f16 v64, v63, v71, v64
	v_mul_f16_sdwa v63, v63, v71 dst_sel:DWORD dst_unused:UNUSED_PAD src0_sel:DWORD src1_sel:WORD_1
	v_lshrrev_b32_e32 v66, 16, v61
	v_fma_f16 v63, v62, v71, -v63
	;; [unrolled: 17-line block ×3, first 2 shown]
	v_mul_f16_sdwa v61, v66, v70 dst_sel:DWORD dst_unused:UNUSED_PAD src0_sel:DWORD src1_sel:WORD_1
	v_fma_f16 v67, v62, v70, -v61
	v_mul_f16_sdwa v68, v62, v70 dst_sel:DWORD dst_unused:UNUSED_PAD src0_sel:DWORD src1_sel:WORD_1
	ds_read2_b32 v[61:62], v32 offset0:72 offset1:81
	v_fma_f16 v66, v66, v70, v68
	v_pack_b32_f16 v63, v63, v64
	v_pack_b32_f16 v64, v67, v66
	ds_write2_b32 v32, v63, v64 offset0:36 offset1:45
	s_waitcnt lgkmcnt(1)
	v_lshrrev_b32_e32 v63, 16, v62
	s_waitcnt vmcnt(3)
	v_mul_f16_sdwa v64, v62, v74 dst_sel:DWORD dst_unused:UNUSED_PAD src0_sel:DWORD src1_sel:WORD_1
	v_fma_f16 v64, v63, v74, v64
	v_mul_f16_sdwa v63, v63, v74 dst_sel:DWORD dst_unused:UNUSED_PAD src0_sel:DWORD src1_sel:WORD_1
	v_lshrrev_b32_e32 v66, 16, v61
	v_fma_f16 v63, v62, v74, -v63
	v_mul_f16_sdwa v62, v66, v65 dst_sel:DWORD dst_unused:UNUSED_PAD src0_sel:DWORD src1_sel:WORD_1
	v_fma_f16 v67, v61, v65, -v62
	v_mul_f16_sdwa v68, v61, v65 dst_sel:DWORD dst_unused:UNUSED_PAD src0_sel:DWORD src1_sel:WORD_1
	ds_read2_b32 v[61:62], v32 offset0:90 offset1:99
	v_fma_f16 v65, v66, v65, v68
	v_pack_b32_f16 v63, v63, v64
	v_pack_b32_f16 v64, v67, v65
	ds_write2_b32 v32, v64, v63 offset0:72 offset1:81
	s_waitcnt lgkmcnt(1)
	v_lshrrev_b32_e32 v63, 16, v61
	s_waitcnt vmcnt(1)
	v_mul_f16_sdwa v64, v61, v78 dst_sel:DWORD dst_unused:UNUSED_PAD src0_sel:DWORD src1_sel:WORD_1
	v_fma_f16 v64, v63, v78, v64
	v_mul_f16_sdwa v63, v63, v78 dst_sel:DWORD dst_unused:UNUSED_PAD src0_sel:DWORD src1_sel:WORD_1
	v_fma_f16 v61, v61, v78, -v63
	v_lshrrev_b32_e32 v63, 16, v62
	ds_read_b32 v66, v32 offset:504
	s_waitcnt vmcnt(0)
	v_mul_f16_sdwa v65, v63, v49 dst_sel:DWORD dst_unused:UNUSED_PAD src0_sel:DWORD src1_sel:WORD_1
	v_fma_f16 v65, v62, v49, -v65
	v_mul_f16_sdwa v62, v62, v49 dst_sel:DWORD dst_unused:UNUSED_PAD src0_sel:DWORD src1_sel:WORD_1
	v_fma_f16 v49, v63, v49, v62
	v_pack_b32_f16 v61, v61, v64
	v_pack_b32_f16 v49, v65, v49
	ds_write2_b32 v32, v61, v49 offset0:90 offset1:99
	s_waitcnt lgkmcnt(1)
	v_lshrrev_b32_e32 v49, 16, v66
	v_mul_f16_sdwa v61, v49, v75 dst_sel:DWORD dst_unused:UNUSED_PAD src0_sel:DWORD src1_sel:WORD_1
	v_mul_f16_sdwa v62, v66, v75 dst_sel:DWORD dst_unused:UNUSED_PAD src0_sel:DWORD src1_sel:WORD_1
	v_fma_f16 v61, v66, v75, -v61
	v_fma_f16 v49, v49, v75, v62
	v_pack_b32_f16 v49, v61, v49
	ds_write_b32 v32, v49 offset:504
	s_waitcnt lgkmcnt(0)
	s_barrier
	ds_read2_b32 v[61:62], v32 offset0:54 offset1:63
	ds_read2_b32 v[63:64], v32 offset0:18 offset1:27
	;; [unrolled: 1-line block ×4, first 2 shown]
	ds_read2_b32 v[69:70], v32 offset1:9
	s_waitcnt lgkmcnt(3)
	v_pk_add_f16 v49, v64, v61 neg_lo:[0,1] neg_hi:[0,1]
	s_waitcnt lgkmcnt(2)
	v_pk_add_f16 v75, v64, v65 neg_lo:[0,1] neg_hi:[0,1]
	;; [unrolled: 2-line block ×3, first 2 shown]
	v_pk_add_f16 v49, v49, v71
	v_pk_add_f16 v71, v61, v68
	s_waitcnt lgkmcnt(0)
	v_pk_fma_f16 v71, v71, 0.5, v69 op_sel_hi:[1,0,1] neg_lo:[1,0,0] neg_hi:[1,0,0]
	v_pk_mul_f16 v72, v75, s17 op_sel_hi:[1,0]
	v_pk_add_f16 v76, v61, v68 neg_lo:[0,1] neg_hi:[0,1]
	v_pk_add_f16 v73, v71, v72 op_sel:[0,1] op_sel_hi:[1,0] neg_lo:[0,1] neg_hi:[0,1]
	v_pk_add_f16 v71, v71, v72 op_sel:[0,1] op_sel_hi:[1,0]
	v_pk_mul_f16 v72, v76, s15 op_sel_hi:[1,0]
	v_pk_add_f16 v78, v71, v72 op_sel:[0,1] op_sel_hi:[1,0]
	v_pk_add_f16 v71, v69, v64
	v_pk_add_f16 v71, v71, v61
	;; [unrolled: 1-line block ×3, first 2 shown]
	v_pk_add_f16 v61, v61, v64 neg_lo:[0,1] neg_hi:[0,1]
	v_pk_add_f16 v64, v64, v65
	v_pk_add_f16 v79, v71, v65
	v_pk_add_f16 v68, v68, v65 neg_lo:[0,1] neg_hi:[0,1]
	v_pk_fma_f16 v64, v64, 0.5, v69 op_sel_hi:[1,0,1] neg_lo:[1,0,0] neg_hi:[1,0,0]
	v_pk_mul_f16 v65, v76, s17 op_sel_hi:[1,0]
	v_pk_add_f16 v77, v73, v72 op_sel:[0,1] op_sel_hi:[1,0] neg_lo:[0,1] neg_hi:[0,1]
	ds_read_b32 v80, v32 offset:504
	ds_read2_b32 v[71:72], v32 offset0:36 offset1:45
	ds_read2_b32 v[73:74], v32 offset0:90 offset1:99
	v_pk_add_f16 v61, v61, v68
	v_pk_add_f16 v68, v64, v65 op_sel:[0,1] op_sel_hi:[1,0]
	v_pk_add_f16 v64, v64, v65 op_sel:[0,1] op_sel_hi:[1,0] neg_lo:[0,1] neg_hi:[0,1]
	v_pk_mul_f16 v65, v75, s15 op_sel_hi:[1,0]
	v_pk_add_f16 v68, v68, v65 op_sel:[0,1] op_sel_hi:[1,0] neg_lo:[0,1] neg_hi:[0,1]
	v_pk_add_f16 v64, v64, v65 op_sel:[0,1] op_sel_hi:[1,0]
	v_bfi_b32 v65, s14, v68, v64
	v_bfi_b32 v64, s14, v64, v68
	v_pk_fma_f16 v65, v61, s16, v65 op_sel_hi:[1,0,1]
	v_pk_fma_f16 v61, v61, s16, v64 op_sel_hi:[1,0,1]
	s_waitcnt lgkmcnt(0)
	s_barrier
	v_bfi_b32 v81, s14, v77, v78
	ds_write2_b32 v52, v65, v61 offset0:2 offset1:3
	v_bfi_b32 v61, s14, v78, v77
	v_pk_fma_f16 v81, v49, s16, v81 op_sel_hi:[1,0,1]
	v_pk_fma_f16 v49, v49, s16, v61 op_sel_hi:[1,0,1]
	v_pk_add_f16 v64, v71, v62 neg_lo:[0,1] neg_hi:[0,1]
	v_pk_add_f16 v65, v66, v73 neg_lo:[0,1] neg_hi:[0,1]
	ds_write_b32 v52, v49 offset:16
	v_pk_add_f16 v49, v62, v73
	v_pk_add_f16 v64, v64, v65
	v_pk_add_f16 v65, v71, v66 neg_lo:[0,1] neg_hi:[0,1]
	v_pk_fma_f16 v49, v49, 0.5, v70 op_sel_hi:[1,0,1] neg_lo:[1,0,0] neg_hi:[1,0,0]
	v_pk_mul_f16 v68, v65, s17 op_sel_hi:[1,0]
	ds_write2_b32 v52, v79, v81 offset1:1
	v_pk_add_f16 v52, v71, v66
	v_pk_add_f16 v69, v49, v68 op_sel:[0,1] op_sel_hi:[1,0] neg_lo:[0,1] neg_hi:[0,1]
	v_pk_add_f16 v49, v49, v68 op_sel:[0,1] op_sel_hi:[1,0]
	v_pk_add_f16 v68, v62, v73 neg_lo:[0,1] neg_hi:[0,1]
	v_pk_fma_f16 v52, v52, 0.5, v70 op_sel_hi:[1,0,1] neg_lo:[1,0,0] neg_hi:[1,0,0]
	v_pk_add_f16 v61, v70, v71
	v_pk_mul_f16 v70, v68, s15 op_sel_hi:[1,0]
	v_pk_add_f16 v69, v69, v70 op_sel:[0,1] op_sel_hi:[1,0] neg_lo:[0,1] neg_hi:[0,1]
	v_pk_add_f16 v49, v49, v70 op_sel:[0,1] op_sel_hi:[1,0]
	v_pk_add_f16 v61, v61, v62
	v_pk_add_f16 v61, v61, v73
	v_bfi_b32 v70, s14, v69, v49
	v_pk_add_f16 v61, v61, v66
	v_pk_fma_f16 v70, v64, s16, v70 op_sel_hi:[1,0,1]
	ds_write2_b32 v50, v61, v70 offset1:1
	v_pk_add_f16 v61, v62, v71 neg_lo:[0,1] neg_hi:[0,1]
	v_pk_add_f16 v62, v73, v66 neg_lo:[0,1] neg_hi:[0,1]
	v_pk_add_f16 v61, v61, v62
	v_pk_mul_f16 v62, v68, s17 op_sel_hi:[1,0]
	v_pk_add_f16 v66, v52, v62 op_sel:[0,1] op_sel_hi:[1,0]
	v_pk_add_f16 v52, v52, v62 op_sel:[0,1] op_sel_hi:[1,0] neg_lo:[0,1] neg_hi:[0,1]
	v_pk_mul_f16 v62, v65, s15 op_sel_hi:[1,0]
	v_pk_add_f16 v65, v66, v62 op_sel:[0,1] op_sel_hi:[1,0] neg_lo:[0,1] neg_hi:[0,1]
	v_pk_add_f16 v52, v52, v62 op_sel:[0,1] op_sel_hi:[1,0]
	v_bfi_b32 v62, s14, v65, v52
	v_bfi_b32 v52, s14, v52, v65
	;; [unrolled: 1-line block ×3, first 2 shown]
	v_pk_fma_f16 v62, v61, s16, v62 op_sel_hi:[1,0,1]
	v_pk_fma_f16 v52, v61, s16, v52 op_sel_hi:[1,0,1]
	;; [unrolled: 1-line block ×3, first 2 shown]
	ds_write2_b32 v50, v62, v52 offset0:2 offset1:3
	ds_write_b32 v50, v49 offset:16
	v_pk_add_f16 v49, v72, v67 neg_lo:[0,1] neg_hi:[0,1]
	v_pk_add_f16 v50, v80, v74 neg_lo:[0,1] neg_hi:[0,1]
	v_pk_add_f16 v49, v49, v50
	v_pk_add_f16 v50, v67, v74
	v_pk_add_f16 v52, v72, v80 neg_lo:[0,1] neg_hi:[0,1]
	v_pk_fma_f16 v50, v50, 0.5, v63 op_sel_hi:[1,0,1] neg_lo:[1,0,0] neg_hi:[1,0,0]
	v_pk_mul_f16 v61, v52, s17 op_sel_hi:[1,0]
	v_pk_add_f16 v62, v50, v61 op_sel:[0,1] op_sel_hi:[1,0] neg_lo:[0,1] neg_hi:[0,1]
	v_pk_add_f16 v50, v50, v61 op_sel:[0,1] op_sel_hi:[1,0]
	v_pk_add_f16 v61, v67, v74 neg_lo:[0,1] neg_hi:[0,1]
	v_pk_mul_f16 v64, v61, s15 op_sel_hi:[1,0]
	v_pk_add_f16 v62, v62, v64 op_sel:[0,1] op_sel_hi:[1,0] neg_lo:[0,1] neg_hi:[0,1]
	v_pk_add_f16 v50, v50, v64 op_sel:[0,1] op_sel_hi:[1,0]
	v_pk_add_f16 v64, v63, v72
	v_pk_add_f16 v64, v64, v67
	;; [unrolled: 1-line block ×3, first 2 shown]
	v_bfi_b32 v65, s14, v62, v50
	v_pk_add_f16 v64, v64, v80
	v_pk_fma_f16 v65, v49, s16, v65 op_sel_hi:[1,0,1]
	ds_write2_b32 v51, v64, v65 offset1:1
	v_pk_add_f16 v65, v72, v80
	v_pk_add_f16 v64, v67, v72 neg_lo:[0,1] neg_hi:[0,1]
	v_pk_fma_f16 v63, v65, 0.5, v63 op_sel_hi:[1,0,1] neg_lo:[1,0,0] neg_hi:[1,0,0]
	v_pk_add_f16 v65, v74, v80 neg_lo:[0,1] neg_hi:[0,1]
	v_pk_mul_f16 v61, v61, s17 op_sel_hi:[1,0]
	v_pk_add_f16 v64, v64, v65
	v_pk_add_f16 v65, v63, v61 op_sel:[0,1] op_sel_hi:[1,0]
	v_pk_add_f16 v61, v63, v61 op_sel:[0,1] op_sel_hi:[1,0] neg_lo:[0,1] neg_hi:[0,1]
	v_pk_mul_f16 v52, v52, s15 op_sel_hi:[1,0]
	v_pk_add_f16 v63, v65, v52 op_sel:[0,1] op_sel_hi:[1,0] neg_lo:[0,1] neg_hi:[0,1]
	v_pk_add_f16 v52, v61, v52 op_sel:[0,1] op_sel_hi:[1,0]
	v_bfi_b32 v61, s14, v63, v52
	v_bfi_b32 v52, s14, v52, v63
	;; [unrolled: 1-line block ×3, first 2 shown]
	v_pk_fma_f16 v61, v64, s16, v61 op_sel_hi:[1,0,1]
	v_pk_fma_f16 v52, v64, s16, v52 op_sel_hi:[1,0,1]
	;; [unrolled: 1-line block ×3, first 2 shown]
	ds_write2_b32 v51, v61, v52 offset0:2 offset1:3
	ds_write_b32 v51, v49 offset:16
	s_waitcnt lgkmcnt(0)
	s_barrier
	ds_read_b32 v51, v32 offset:504
	ds_read2_b32 v[49:50], v32 offset0:72 offset1:81
	s_waitcnt lgkmcnt(1)
	v_lshrrev_b32_e32 v52, 16, v51
	v_mul_f16_sdwa v61, v21, v52 dst_sel:DWORD dst_unused:UNUSED_PAD src0_sel:WORD_1 src1_sel:DWORD
	v_fma_f16 v61, v21, v51, v61
	v_mul_f16_sdwa v51, v21, v51 dst_sel:DWORD dst_unused:UNUSED_PAD src0_sel:WORD_1 src1_sel:DWORD
	v_fma_f16 v51, v21, v52, -v51
	s_waitcnt lgkmcnt(0)
	v_lshrrev_b32_e32 v21, 16, v50
	v_mul_f16_sdwa v52, v20, v50 dst_sel:DWORD dst_unused:UNUSED_PAD src0_sel:WORD_1 src1_sel:DWORD
	v_fma_f16 v52, v20, v21, -v52
	v_mul_f16_sdwa v21, v20, v21 dst_sel:DWORD dst_unused:UNUSED_PAD src0_sel:WORD_1 src1_sel:DWORD
	v_fma_f16 v50, v20, v50, v21
	ds_read2_b32 v[20:21], v32 offset0:108 offset1:117
	v_lshrrev_b32_e32 v62, 16, v49
	v_mul_f16_sdwa v63, v12, v62 dst_sel:DWORD dst_unused:UNUSED_PAD src0_sel:WORD_1 src1_sel:DWORD
	v_fma_f16 v63, v12, v49, v63
	v_mul_f16_sdwa v49, v12, v49 dst_sel:DWORD dst_unused:UNUSED_PAD src0_sel:WORD_1 src1_sel:DWORD
	v_fma_f16 v49, v12, v62, -v49
	s_waitcnt lgkmcnt(0)
	v_lshrrev_b32_e32 v12, 16, v21
	v_mul_f16_sdwa v62, v13, v21 dst_sel:DWORD dst_unused:UNUSED_PAD src0_sel:WORD_1 src1_sel:DWORD
	v_fma_f16 v62, v13, v12, -v62
	v_mul_f16_sdwa v12, v13, v12 dst_sel:DWORD dst_unused:UNUSED_PAD src0_sel:WORD_1 src1_sel:DWORD
	v_fma_f16 v21, v13, v21, v12
	ds_read2_b32 v[12:13], v32 offset0:54 offset1:63
	v_lshrrev_b32_e32 v64, 16, v20
	v_mul_f16_sdwa v65, v9, v64 dst_sel:DWORD dst_unused:UNUSED_PAD src0_sel:WORD_1 src1_sel:DWORD
	v_fma_f16 v65, v9, v20, v65
	v_mul_f16_sdwa v20, v9, v20 dst_sel:DWORD dst_unused:UNUSED_PAD src0_sel:WORD_1 src1_sel:DWORD
	v_fma_f16 v20, v9, v64, -v20
	s_waitcnt lgkmcnt(0)
	v_lshrrev_b32_e32 v9, 16, v13
	v_mul_f16_sdwa v64, v8, v13 dst_sel:DWORD dst_unused:UNUSED_PAD src0_sel:WORD_1 src1_sel:DWORD
	v_fma_f16 v64, v8, v9, -v64
	v_mul_f16_sdwa v9, v8, v9 dst_sel:DWORD dst_unused:UNUSED_PAD src0_sel:WORD_1 src1_sel:DWORD
	v_fma_f16 v13, v8, v13, v9
	ds_read2_b32 v[8:9], v32 offset0:90 offset1:99
	v_lshrrev_b32_e32 v66, 16, v12
	v_mul_f16_sdwa v67, v4, v66 dst_sel:DWORD dst_unused:UNUSED_PAD src0_sel:WORD_1 src1_sel:DWORD
	v_fma_f16 v67, v4, v12, v67
	v_mul_f16_sdwa v12, v4, v12 dst_sel:DWORD dst_unused:UNUSED_PAD src0_sel:WORD_1 src1_sel:DWORD
	v_fma_f16 v12, v4, v66, -v12
	s_waitcnt lgkmcnt(0)
	v_lshrrev_b32_e32 v4, 16, v9
	v_mul_f16_sdwa v66, v5, v9 dst_sel:DWORD dst_unused:UNUSED_PAD src0_sel:WORD_1 src1_sel:DWORD
	v_fma_f16 v66, v5, v4, -v66
	v_mul_f16_sdwa v4, v5, v4 dst_sel:DWORD dst_unused:UNUSED_PAD src0_sel:WORD_1 src1_sel:DWORD
	v_fma_f16 v68, v5, v9, v4
	v_lshrrev_b32_e32 v9, 16, v8
	ds_read2_b32 v[4:5], v32 offset0:36 offset1:45
	v_mul_f16_sdwa v69, v3, v9 dst_sel:DWORD dst_unused:UNUSED_PAD src0_sel:WORD_1 src1_sel:DWORD
	v_fma_f16 v69, v3, v8, v69
	v_mul_f16_sdwa v8, v3, v8 dst_sel:DWORD dst_unused:UNUSED_PAD src0_sel:WORD_1 src1_sel:DWORD
	v_fma_f16 v3, v3, v9, -v8
	ds_read2_b32 v[8:9], v32 offset1:9
	s_waitcnt lgkmcnt(1)
	v_lshrrev_b32_e32 v70, 16, v5
	v_mul_f16_sdwa v71, v2, v5 dst_sel:DWORD dst_unused:UNUSED_PAD src0_sel:WORD_1 src1_sel:DWORD
	v_fma_f16 v71, v2, v70, -v71
	v_mul_f16_sdwa v70, v2, v70 dst_sel:DWORD dst_unused:UNUSED_PAD src0_sel:WORD_1 src1_sel:DWORD
	v_fma_f16 v2, v2, v5, v70
	s_waitcnt lgkmcnt(0)
	v_lshrrev_b32_e32 v5, 16, v8
	v_add_f16_e32 v70, v5, v71
	v_add_f16_e32 v70, v70, v3
	v_sub_f16_e32 v72, v71, v3
	v_add_f16_e32 v3, v71, v3
	v_fma_f16 v5, v3, -0.5, v5
	v_add_f16_e32 v3, v8, v2
	v_add_f16_e32 v71, v2, v69
	;; [unrolled: 1-line block ×3, first 2 shown]
	v_sub_f16_e32 v69, v2, v69
	v_fma_f16 v8, v71, -0.5, v8
	v_pack_b32_f16 v70, v3, v70
	v_fma_f16 v2, v72, s13, v8
	v_fma_f16 v3, v69, s12, v5
	;; [unrolled: 1-line block ×4, first 2 shown]
	v_pack_b32_f16 v5, v8, v5
	v_pack_b32_f16 v71, v2, v3
	ds_read2_b32 v[2:3], v32 offset0:18 offset1:27
	s_waitcnt lgkmcnt(0)
	s_barrier
	ds_write_b32 v56, v5 offset:40
	v_add_f16_e32 v5, v67, v68
	v_lshrrev_b32_e32 v8, 16, v9
	ds_write2_b32 v56, v70, v71 offset1:5
	v_fma_f16 v5, v5, -0.5, v9
	v_add_f16_e32 v9, v9, v67
	v_add_f16_e32 v56, v8, v12
	v_sub_f16_e32 v69, v12, v66
	v_add_f16_e32 v12, v12, v66
	v_add_f16_e32 v56, v56, v66
	v_fma_f16 v8, v12, -0.5, v8
	v_add_f16_e32 v9, v9, v68
	v_sub_f16_e32 v12, v67, v68
	v_pack_b32_f16 v9, v9, v56
	v_fma_f16 v56, v69, s13, v5
	v_fma_f16 v66, v12, s12, v8
	;; [unrolled: 1-line block ×4, first 2 shown]
	v_pack_b32_f16 v5, v5, v8
	ds_write_b32 v58, v5 offset:40
	v_lshrrev_b32_e32 v5, 16, v2
	v_pack_b32_f16 v56, v56, v66
	v_add_f16_e32 v8, v5, v64
	v_add_f16_e32 v12, v64, v20
	ds_write2_b32 v58, v9, v56 offset1:5
	v_add_f16_e32 v8, v8, v20
	v_sub_f16_e32 v9, v64, v20
	v_fma_f16 v5, v12, -0.5, v5
	v_add_f16_e32 v12, v2, v13
	v_add_f16_e32 v20, v13, v65
	;; [unrolled: 1-line block ×3, first 2 shown]
	v_sub_f16_e32 v13, v13, v65
	v_fma_f16 v2, v20, -0.5, v2
	v_pack_b32_f16 v8, v12, v8
	v_fma_f16 v12, v9, s13, v2
	v_fma_f16 v20, v13, s12, v5
	v_pack_b32_f16 v12, v12, v20
	ds_write2_b32 v54, v8, v12 offset1:5
	v_add_f16_e32 v8, v63, v21
	v_fma_f16 v2, v9, s12, v2
	v_fma_f16 v8, v8, -0.5, v3
	v_lshrrev_b32_e32 v9, 16, v3
	v_sub_f16_e32 v12, v49, v62
	v_add_f16_e32 v20, v49, v62
	v_fma_f16 v5, v13, s13, v5
	v_add_f16_e32 v3, v3, v63
	v_fma_f16 v13, v12, s13, v8
	v_fma_f16 v8, v12, s12, v8
	v_add_f16_e32 v12, v9, v49
	v_fma_f16 v9, v20, -0.5, v9
	v_sub_f16_e32 v20, v63, v21
	v_add_f16_e32 v3, v3, v21
	v_fma_f16 v21, v20, s12, v9
	v_fma_f16 v9, v20, s13, v9
	v_add_f16_e32 v20, v50, v61
	v_fma_f16 v20, v20, -0.5, v4
	v_lshrrev_b32_e32 v49, 16, v4
	v_sub_f16_e32 v56, v52, v51
	v_fma_f16 v58, v56, s13, v20
	v_fma_f16 v20, v56, s12, v20
	v_add_f16_e32 v56, v49, v52
	v_add_f16_e32 v12, v12, v62
	;; [unrolled: 1-line block ×4, first 2 shown]
	v_pack_b32_f16 v2, v2, v5
	v_add_f16_e32 v4, v4, v50
	v_fma_f16 v49, v51, -0.5, v49
	v_sub_f16_e32 v50, v50, v61
	ds_write_b32 v54, v2 offset:40
	v_pack_b32_f16 v2, v3, v12
	v_pack_b32_f16 v3, v13, v21
	v_add_f16_e32 v4, v4, v61
	v_fma_f16 v51, v50, s12, v49
	ds_write2_b32 v59, v2, v3 offset1:5
	v_pack_b32_f16 v2, v8, v9
	v_fma_f16 v49, v50, s13, v49
	ds_write_b32 v59, v2 offset:40
	v_pack_b32_f16 v2, v4, v56
	v_pack_b32_f16 v3, v58, v51
	ds_write2_b32 v60, v2, v3 offset1:5
	v_pack_b32_f16 v2, v20, v49
	ds_write_b32 v60, v2 offset:40
	s_waitcnt lgkmcnt(0)
	s_barrier
	ds_read2_b32 v[2:3], v32 offset0:36 offset1:45
	ds_read2_b32 v[4:5], v32 offset0:90 offset1:99
	;; [unrolled: 1-line block ×3, first 2 shown]
	ds_read2_b32 v[12:13], v32 offset1:9
	ds_read2_b32 v[20:21], v32 offset0:108 offset1:117
	s_waitcnt lgkmcnt(4)
	v_lshrrev_b32_e32 v49, 16, v3
	v_mul_f16_sdwa v56, v18, v49 dst_sel:DWORD dst_unused:UNUSED_PAD src0_sel:WORD_1 src1_sel:DWORD
	v_fma_f16 v56, v18, v3, v56
	v_mul_f16_sdwa v3, v18, v3 dst_sel:DWORD dst_unused:UNUSED_PAD src0_sel:WORD_1 src1_sel:DWORD
	s_waitcnt lgkmcnt(3)
	v_lshrrev_b32_e32 v50, 16, v4
	v_fma_f16 v18, v18, v49, -v3
	v_mul_f16_sdwa v3, v19, v4 dst_sel:DWORD dst_unused:UNUSED_PAD src0_sel:WORD_1 src1_sel:DWORD
	v_lshrrev_b32_e32 v52, 16, v5
	v_fma_f16 v49, v19, v50, -v3
	v_mul_f16_sdwa v3, v19, v50 dst_sel:DWORD dst_unused:UNUSED_PAD src0_sel:WORD_1 src1_sel:DWORD
	v_fma_f16 v19, v19, v4, v3
	v_mul_f16_sdwa v3, v29, v52 dst_sel:DWORD dst_unused:UNUSED_PAD src0_sel:WORD_1 src1_sel:DWORD
	v_fma_f16 v50, v29, v5, v3
	v_mul_f16_sdwa v5, v29, v5 dst_sel:DWORD dst_unused:UNUSED_PAD src0_sel:WORD_1 src1_sel:DWORD
	s_waitcnt lgkmcnt(2)
	v_lshrrev_b32_e32 v51, 16, v8
	v_fma_f16 v5, v29, v52, -v5
	v_mul_f16_sdwa v29, v28, v8 dst_sel:DWORD dst_unused:UNUSED_PAD src0_sel:WORD_1 src1_sel:DWORD
	v_lshrrev_b32_e32 v54, 16, v9
	v_fma_f16 v29, v28, v51, -v29
	v_mul_f16_sdwa v51, v28, v51 dst_sel:DWORD dst_unused:UNUSED_PAD src0_sel:WORD_1 src1_sel:DWORD
	v_fma_f16 v8, v28, v8, v51
	v_mul_f16_sdwa v51, v30, v54 dst_sel:DWORD dst_unused:UNUSED_PAD src0_sel:WORD_1 src1_sel:DWORD
	ds_read2_b32 v[3:4], v32 offset0:72 offset1:81
	v_fma_f16 v51, v30, v9, v51
	v_mul_f16_sdwa v9, v30, v9 dst_sel:DWORD dst_unused:UNUSED_PAD src0_sel:WORD_1 src1_sel:DWORD
	s_waitcnt lgkmcnt(1)
	v_lshrrev_b32_e32 v28, 16, v20
	v_fma_f16 v9, v30, v54, -v9
	v_mul_f16_sdwa v30, v31, v20 dst_sel:DWORD dst_unused:UNUSED_PAD src0_sel:WORD_1 src1_sel:DWORD
	v_fma_f16 v30, v31, v28, -v30
	v_mul_f16_sdwa v28, v31, v28 dst_sel:DWORD dst_unused:UNUSED_PAD src0_sel:WORD_1 src1_sel:DWORD
	v_fma_f16 v20, v31, v20, v28
	v_lshrrev_b32_e32 v28, 16, v21
	v_mul_f16_sdwa v31, v23, v28 dst_sel:DWORD dst_unused:UNUSED_PAD src0_sel:WORD_1 src1_sel:DWORD
	ds_read_b32 v54, v32 offset:504
	s_waitcnt lgkmcnt(1)
	v_lshrrev_b32_e32 v52, 16, v3
	v_fma_f16 v31, v23, v21, v31
	v_mul_f16_sdwa v21, v23, v21 dst_sel:DWORD dst_unused:UNUSED_PAD src0_sel:WORD_1 src1_sel:DWORD
	v_fma_f16 v21, v23, v28, -v21
	v_mul_f16_sdwa v23, v22, v3 dst_sel:DWORD dst_unused:UNUSED_PAD src0_sel:WORD_1 src1_sel:DWORD
	v_mul_f16_sdwa v28, v22, v52 dst_sel:DWORD dst_unused:UNUSED_PAD src0_sel:WORD_1 src1_sel:DWORD
	v_fma_f16 v23, v22, v52, -v23
	v_fma_f16 v22, v22, v3, v28
	v_lshrrev_b32_e32 v3, 16, v4
	v_mul_f16_sdwa v28, v26, v3 dst_sel:DWORD dst_unused:UNUSED_PAD src0_sel:WORD_1 src1_sel:DWORD
	v_fma_f16 v28, v26, v4, v28
	v_mul_f16_sdwa v4, v26, v4 dst_sel:DWORD dst_unused:UNUSED_PAD src0_sel:WORD_1 src1_sel:DWORD
	s_waitcnt lgkmcnt(0)
	v_lshrrev_b32_e32 v52, 16, v54
	v_fma_f16 v26, v26, v3, -v4
	v_mul_f16_sdwa v3, v27, v52 dst_sel:DWORD dst_unused:UNUSED_PAD src0_sel:WORD_1 src1_sel:DWORD
	v_fma_f16 v58, v27, v54, v3
	v_mul_f16_sdwa v3, v27, v54 dst_sel:DWORD dst_unused:UNUSED_PAD src0_sel:WORD_1 src1_sel:DWORD
	v_fma_f16 v27, v27, v52, -v3
	v_add_f16_e32 v3, v56, v19
	v_fma_f16 v3, v3, -0.5, v12
	v_sub_f16_e32 v4, v18, v49
	v_fma_f16 v52, v4, s13, v3
	v_fma_f16 v54, v4, s12, v3
	v_lshrrev_b32_e32 v3, 16, v12
	v_add_f16_e32 v4, v3, v18
	v_add_f16_e32 v59, v4, v49
	;; [unrolled: 1-line block ×3, first 2 shown]
	v_fma_f16 v3, v4, -0.5, v3
	v_add_f16_e32 v4, v12, v56
	v_add_f16_e32 v12, v4, v19
	v_sub_f16_e32 v4, v56, v19
	v_fma_f16 v18, v4, s12, v3
	v_fma_f16 v19, v4, s13, v3
	v_add_f16_e32 v3, v8, v50
	v_fma_f16 v3, v3, -0.5, v13
	v_lshrrev_b32_e32 v4, 16, v13
	v_sub_f16_e32 v49, v29, v5
	v_fma_f16 v56, v49, s13, v3
	v_fma_f16 v49, v49, s12, v3
	v_add_f16_e32 v3, v4, v29
	v_add_f16_e32 v60, v3, v5
	;; [unrolled: 1-line block ×3, first 2 shown]
	v_fma_f16 v5, v3, -0.5, v4
	ds_read2_b32 v[3:4], v32 offset0:18 offset1:27
	v_add_f16_e32 v13, v13, v8
	v_sub_f16_e32 v8, v8, v50
	v_fma_f16 v29, v8, s12, v5
	v_fma_f16 v5, v8, s13, v5
	v_pack_b32_f16 v8, v12, v59
	v_pack_b32_f16 v12, v52, v18
	v_add_f16_e32 v18, v51, v20
	s_waitcnt lgkmcnt(0)
	v_fma_f16 v18, v18, -0.5, v3
	s_barrier
	ds_write2_b32 v32, v8, v12 offset1:15
	v_sub_f16_e32 v8, v9, v30
	v_fma_f16 v12, v8, s13, v18
	v_fma_f16 v8, v8, s12, v18
	v_lshrrev_b32_e32 v18, 16, v3
	v_add_f16_e32 v13, v13, v50
	v_add_f16_e32 v50, v18, v9
	;; [unrolled: 1-line block ×3, first 2 shown]
	v_fma_f16 v9, v9, -0.5, v18
	v_add_f16_e32 v3, v3, v51
	v_sub_f16_e32 v18, v51, v20
	v_add_f16_e32 v3, v3, v20
	v_fma_f16 v20, v18, s12, v9
	v_fma_f16 v9, v18, s13, v9
	v_add_f16_e32 v18, v22, v31
	v_add_f16_e32 v50, v50, v30
	v_fma_f16 v18, v18, -0.5, v4
	v_lshrrev_b32_e32 v30, 16, v4
	v_sub_f16_e32 v51, v23, v21
	v_fma_f16 v52, v51, s13, v18
	v_fma_f16 v18, v51, s12, v18
	v_add_f16_e32 v51, v30, v23
	v_add_f16_e32 v51, v51, v21
	;; [unrolled: 1-line block ×4, first 2 shown]
	v_fma_f16 v21, v21, -0.5, v30
	v_sub_f16_e32 v22, v22, v31
	v_fma_f16 v23, v22, s12, v21
	v_fma_f16 v21, v22, s13, v21
	v_add_f16_e32 v22, v28, v58
	v_pack_b32_f16 v19, v54, v19
	v_pack_b32_f16 v5, v49, v5
	v_add_f16_e32 v4, v4, v31
	v_fma_f16 v22, v22, -0.5, v2
	v_lshrrev_b32_e32 v30, 16, v2
	v_sub_f16_e32 v31, v26, v27
	ds_write_b32 v32, v19 offset:120
	v_pack_b32_f16 v13, v13, v60
	v_pack_b32_f16 v19, v56, v29
	ds_write_b32 v53, v5 offset:120
	v_pack_b32_f16 v3, v3, v50
	v_pack_b32_f16 v5, v12, v20
	v_fma_f16 v59, v31, s13, v22
	v_fma_f16 v22, v31, s12, v22
	v_add_f16_e32 v31, v30, v26
	v_add_f16_e32 v26, v26, v27
	ds_write2_b32 v53, v13, v19 offset1:15
	ds_write2_b32 v32, v3, v5 offset0:48 offset1:63
	v_pack_b32_f16 v3, v8, v9
	v_add_f16_e32 v2, v2, v28
	v_add_f16_e32 v31, v31, v27
	v_fma_f16 v26, v26, -0.5, v30
	v_sub_f16_e32 v27, v28, v58
	ds_write_b32 v32, v3 offset:312
	v_pack_b32_f16 v3, v4, v51
	v_pack_b32_f16 v4, v52, v23
	v_add_f16_e32 v2, v2, v58
	v_fma_f16 v28, v27, s12, v26
	ds_write2_b32 v55, v3, v4 offset1:15
	v_pack_b32_f16 v3, v18, v21
	v_fma_f16 v26, v27, s13, v26
	ds_write_b32 v55, v3 offset:120
	v_pack_b32_f16 v2, v2, v31
	v_pack_b32_f16 v3, v59, v28
	ds_write2_b32 v57, v2, v3 offset0:90 offset1:105
	v_pack_b32_f16 v2, v22, v26
	ds_write_b32 v57, v2 offset:480
	s_waitcnt lgkmcnt(0)
	s_barrier
	ds_read2_b32 v[2:3], v32 offset1:9
	ds_read2_b32 v[4:5], v32 offset0:36 offset1:45
	ds_read2_b32 v[8:9], v32 offset0:90 offset1:99
	;; [unrolled: 1-line block ×5, first 2 shown]
	s_waitcnt lgkmcnt(4)
	v_lshrrev_b32_e32 v27, 16, v5
	v_mul_f16_sdwa v57, v6, v27 dst_sel:DWORD dst_unused:UNUSED_PAD src0_sel:WORD_1 src1_sel:DWORD
	s_waitcnt lgkmcnt(3)
	v_lshrrev_b32_e32 v28, 16, v8
	v_fma_f16 v57, v6, v5, v57
	v_mul_f16_sdwa v5, v6, v5 dst_sel:DWORD dst_unused:UNUSED_PAD src0_sel:WORD_1 src1_sel:DWORD
	v_lshrrev_b32_e32 v31, 16, v9
	v_fma_f16 v5, v6, v27, -v5
	v_mul_f16_sdwa v6, v7, v8 dst_sel:DWORD dst_unused:UNUSED_PAD src0_sel:WORD_1 src1_sel:DWORD
	v_mul_f16_sdwa v27, v7, v28 dst_sel:DWORD dst_unused:UNUSED_PAD src0_sel:WORD_1 src1_sel:DWORD
	v_fma_f16 v6, v7, v28, -v6
	v_fma_f16 v7, v7, v8, v27
	v_mul_f16_sdwa v27, v15, v31 dst_sel:DWORD dst_unused:UNUSED_PAD src0_sel:WORD_1 src1_sel:DWORD
	v_fma_f16 v27, v15, v9, v27
	v_mul_f16_sdwa v9, v15, v9 dst_sel:DWORD dst_unused:UNUSED_PAD src0_sel:WORD_1 src1_sel:DWORD
	s_waitcnt lgkmcnt(2)
	v_lshrrev_b32_e32 v30, 16, v12
	v_fma_f16 v9, v15, v31, -v9
	v_mul_f16_sdwa v15, v14, v12 dst_sel:DWORD dst_unused:UNUSED_PAD src0_sel:WORD_1 src1_sel:DWORD
	v_lshrrev_b32_e32 v50, 16, v13
	v_fma_f16 v15, v14, v30, -v15
	v_mul_f16_sdwa v30, v14, v30 dst_sel:DWORD dst_unused:UNUSED_PAD src0_sel:WORD_1 src1_sel:DWORD
	v_fma_f16 v12, v14, v12, v30
	v_mul_f16_sdwa v14, v10, v50 dst_sel:DWORD dst_unused:UNUSED_PAD src0_sel:WORD_1 src1_sel:DWORD
	s_waitcnt lgkmcnt(1)
	v_lshrrev_b32_e32 v51, 16, v20
	v_fma_f16 v14, v10, v13, v14
	v_mul_f16_sdwa v13, v10, v13 dst_sel:DWORD dst_unused:UNUSED_PAD src0_sel:WORD_1 src1_sel:DWORD
	v_fma_f16 v10, v10, v50, -v13
	v_mul_f16_sdwa v13, v11, v51 dst_sel:DWORD dst_unused:UNUSED_PAD src0_sel:WORD_1 src1_sel:DWORD
	s_waitcnt lgkmcnt(0)
	v_lshrrev_b32_e32 v53, 16, v22
	v_fma_f16 v13, v11, v20, v13
	v_mul_f16_sdwa v20, v11, v20 dst_sel:DWORD dst_unused:UNUSED_PAD src0_sel:WORD_1 src1_sel:DWORD
	v_fma_f16 v11, v11, v51, -v20
	v_mul_f16_sdwa v20, v16, v53 dst_sel:DWORD dst_unused:UNUSED_PAD src0_sel:WORD_1 src1_sel:DWORD
	v_lshrrev_b32_e32 v54, 16, v21
	ds_read_b32 v56, v32 offset:504
	v_fma_f16 v20, v16, v22, v20
	v_mul_f16_sdwa v22, v16, v22 dst_sel:DWORD dst_unused:UNUSED_PAD src0_sel:WORD_1 src1_sel:DWORD
	v_fma_f16 v16, v16, v53, -v22
	v_mul_f16_sdwa v22, v17, v54 dst_sel:DWORD dst_unused:UNUSED_PAD src0_sel:WORD_1 src1_sel:DWORD
	v_lshrrev_b32_e32 v8, 16, v23
	v_fma_f16 v22, v17, v21, v22
	v_mul_f16_sdwa v21, v17, v21 dst_sel:DWORD dst_unused:UNUSED_PAD src0_sel:WORD_1 src1_sel:DWORD
	v_fma_f16 v17, v17, v54, -v21
	v_mul_f16_sdwa v21, v24, v8 dst_sel:DWORD dst_unused:UNUSED_PAD src0_sel:WORD_1 src1_sel:DWORD
	v_fma_f16 v21, v24, v23, v21
	v_mul_f16_sdwa v23, v24, v23 dst_sel:DWORD dst_unused:UNUSED_PAD src0_sel:WORD_1 src1_sel:DWORD
	s_waitcnt lgkmcnt(0)
	v_lshrrev_b32_e32 v28, 16, v56
	v_fma_f16 v8, v24, v8, -v23
	v_mul_f16_sdwa v24, v25, v56 dst_sel:DWORD dst_unused:UNUSED_PAD src0_sel:WORD_1 src1_sel:DWORD
	v_mul_f16_sdwa v23, v25, v28 dst_sel:DWORD dst_unused:UNUSED_PAD src0_sel:WORD_1 src1_sel:DWORD
	v_fma_f16 v24, v25, v28, -v24
	v_add_f16_e32 v28, v57, v7
	v_lshrrev_b32_e32 v26, 16, v2
	v_fma_f16 v23, v25, v56, v23
	v_add_f16_e32 v25, v2, v57
	v_fma_f16 v2, v28, -0.5, v2
	v_sub_f16_e32 v28, v5, v6
	v_fma_f16 v30, v28, s13, v2
	v_fma_f16 v2, v28, s12, v2
	v_add_f16_e32 v28, v26, v5
	v_add_f16_e32 v5, v5, v6
	ds_read2_b32 v[18:19], v32 offset0:18 offset1:27
	v_add_f16_e32 v28, v28, v6
	v_fma_f16 v5, v5, -0.5, v26
	v_sub_f16_e32 v6, v57, v7
	v_add_f16_e32 v26, v12, v27
	v_lshrrev_b32_e32 v29, 16, v3
	v_add_f16_e32 v25, v25, v7
	v_fma_f16 v7, v6, s12, v5
	v_fma_f16 v5, v6, s13, v5
	v_add_f16_e32 v6, v3, v12
	v_fma_f16 v3, v26, -0.5, v3
	v_sub_f16_e32 v26, v15, v9
	v_fma_f16 v31, v26, s13, v3
	v_fma_f16 v3, v26, s12, v3
	v_add_f16_e32 v26, v29, v15
	v_add_f16_e32 v26, v26, v9
	;; [unrolled: 1-line block ×4, first 2 shown]
	v_fma_f16 v9, v9, -0.5, v29
	v_sub_f16_e32 v12, v12, v27
	v_add_f16_e32 v27, v14, v13
	s_waitcnt lgkmcnt(0)
	v_lshrrev_b32_e32 v49, 16, v18
	v_fma_f16 v15, v12, s12, v9
	v_fma_f16 v9, v12, s13, v9
	v_add_f16_e32 v12, v18, v14
	v_fma_f16 v18, v27, -0.5, v18
	v_sub_f16_e32 v27, v10, v11
	v_fma_f16 v29, v27, s13, v18
	v_fma_f16 v18, v27, s12, v18
	v_add_f16_e32 v27, v49, v10
	v_add_f16_e32 v10, v10, v11
	;; [unrolled: 1-line block ×3, first 2 shown]
	v_fma_f16 v10, v10, -0.5, v49
	v_sub_f16_e32 v11, v14, v13
	v_add_f16_e32 v14, v20, v22
	v_lshrrev_b32_e32 v52, 16, v19
	v_add_f16_e32 v12, v12, v13
	v_fma_f16 v13, v11, s12, v10
	v_fma_f16 v10, v11, s13, v10
	v_add_f16_e32 v11, v19, v20
	v_fma_f16 v14, v14, -0.5, v19
	v_sub_f16_e32 v19, v16, v17
	v_fma_f16 v49, v19, s13, v14
	v_fma_f16 v14, v19, s12, v14
	v_add_f16_e32 v19, v52, v16
	v_add_f16_e32 v16, v16, v17
	;; [unrolled: 1-line block ×4, first 2 shown]
	v_fma_f16 v16, v16, -0.5, v52
	v_sub_f16_e32 v17, v20, v22
	v_add_f16_e32 v22, v21, v23
	v_lshrrev_b32_e32 v55, 16, v4
	v_fma_f16 v20, v17, s12, v16
	v_fma_f16 v16, v17, s13, v16
	v_add_f16_e32 v17, v4, v21
	v_fma_f16 v4, v22, -0.5, v4
	v_sub_f16_e32 v22, v8, v24
	v_fma_f16 v50, v22, s13, v4
	v_fma_f16 v4, v22, s12, v4
	v_add_f16_e32 v22, v55, v8
	v_add_f16_e32 v8, v8, v24
	v_fma_f16 v8, v8, -0.5, v55
	v_sub_f16_e32 v21, v21, v23
	v_pack_b32_f16 v2, v2, v5
	v_add_f16_e32 v17, v17, v23
	v_fma_f16 v23, v21, s12, v8
	v_fma_f16 v8, v21, s13, v8
	v_pack_b32_f16 v21, v25, v28
	v_pack_b32_f16 v7, v30, v7
	ds_write_b32 v32, v2 offset:360
	v_pack_b32_f16 v2, v6, v26
	ds_write_b32 v32, v7 offset:180
	ds_write2_b32 v32, v21, v2 offset1:9
	v_pack_b32_f16 v2, v31, v15
	v_pack_b32_f16 v3, v3, v9
	;; [unrolled: 1-line block ×3, first 2 shown]
	ds_write_b32 v32, v3 offset:396
	v_pack_b32_f16 v3, v12, v27
	ds_write2_b32 v32, v2, v5 offset0:54 offset1:63
	v_pack_b32_f16 v5, v11, v19
	v_add_f16_e32 v22, v22, v24
	v_pack_b32_f16 v2, v18, v10
	ds_write2_b32 v32, v3, v5 offset0:18 offset1:27
	v_pack_b32_f16 v5, v14, v16
	ds_write2_b32 v32, v2, v5 offset0:108 offset1:117
	v_pack_b32_f16 v2, v17, v22
	v_pack_b32_f16 v3, v49, v20
	ds_write_b32 v32, v2 offset:144
	v_pack_b32_f16 v2, v50, v23
	ds_write2_b32 v32, v3, v2 offset0:72 offset1:81
	v_pack_b32_f16 v2, v4, v8
	ds_write_b32 v32, v2 offset:504
	s_waitcnt lgkmcnt(0)
	s_barrier
	ds_read2_b32 v[2:3], v32 offset1:9
	s_waitcnt lgkmcnt(0)
	v_lshrrev_b32_e32 v10, 16, v2
	v_mul_f16_sdwa v4, v0, v10 dst_sel:DWORD dst_unused:UNUSED_PAD src0_sel:WORD_1 src1_sel:DWORD
	v_fma_f16 v4, v0, v2, v4
	v_cvt_f32_f16_e32 v6, v4
	v_mad_u64_u32 v[4:5], s[0:1], s10, v1, 0
	v_mul_f16_sdwa v2, v0, v2 dst_sel:DWORD dst_unused:UNUSED_PAD src0_sel:WORD_1 src1_sel:DWORD
	v_cvt_f64_f32_e32 v[6:7], v6
	v_fma_f16 v0, v0, v10, -v2
	v_cvt_f32_f16_e32 v0, v0
	s_movk_i32 s10, 0x40f
	v_mul_f64 v[6:7], v[6:7], s[2:3]
	v_mad_u64_u32 v[8:9], s[0:1], s11, v1, v[5:6]
	v_and_or_b32 v1, v7, s6, v6
	v_cmp_ne_u32_e32 vcc, 0, v1
	v_mov_b32_e32 v5, v8
	v_cndmask_b32_e64 v1, 0, 1, vcc
	v_lshrrev_b32_e32 v6, 8, v7
	v_bfe_u32 v8, v7, 20, 11
	v_and_or_b32 v6, v6, s7, v1
	v_sub_u32_e32 v9, 0x3f1, v8
	v_or_b32_e32 v1, 0x1000, v6
	v_med3_i32 v9, v9, 0, 13
	v_lshrrev_b32_e32 v11, v9, v1
	v_lshlrev_b32_e32 v9, v9, v11
	v_cmp_ne_u32_e32 vcc, v9, v1
	v_cndmask_b32_e64 v1, 0, 1, vcc
	v_add_u32_e32 v9, 0xfffffc10, v8
	v_or_b32_e32 v1, v11, v1
	v_lshl_or_b32 v8, v9, 12, v6
	v_cmp_gt_i32_e32 vcc, 1, v9
	v_cndmask_b32_e32 v1, v8, v1, vcc
	v_and_b32_e32 v8, 7, v1
	v_cmp_lt_i32_e32 vcc, 5, v8
	v_cmp_eq_u32_e64 s[0:1], 3, v8
	v_lshrrev_b32_e32 v1, 2, v1
	s_or_b64 vcc, s[0:1], vcc
	v_addc_co_u32_e32 v2, vcc, 0, v1, vcc
	v_cvt_f64_f32_e32 v[0:1], v0
	v_mov_b32_e32 v8, 0x7c00
	v_cmp_gt_i32_e32 vcc, 31, v9
	v_cndmask_b32_e32 v10, v8, v2, vcc
	v_mul_f64 v[1:2], v[0:1], s[2:3]
	v_cmp_ne_u32_e32 vcc, 0, v6
	v_cndmask_b32_e64 v6, 0, 1, vcc
	v_lshl_or_b32 v0, v6, 9, v8
	v_cmp_eq_u32_e32 vcc, s10, v9
	v_cndmask_b32_e32 v0, v10, v0, vcc
	v_lshrrev_b32_e32 v6, 16, v7
	s_mov_b32 s11, 0x8000
	v_and_or_b32 v11, v6, s11, v0
	v_and_or_b32 v0, v2, s6, v1
	v_cmp_ne_u32_e32 vcc, 0, v0
	v_cndmask_b32_e64 v0, 0, 1, vcc
	v_lshrrev_b32_e32 v1, 8, v2
	v_bfe_u32 v6, v2, 20, 11
	v_and_or_b32 v0, v1, s7, v0
	v_sub_u32_e32 v7, 0x3f1, v6
	v_or_b32_e32 v1, 0x1000, v0
	v_med3_i32 v7, v7, 0, 13
	v_lshrrev_b32_e32 v9, v7, v1
	v_lshlrev_b32_e32 v7, v7, v9
	v_cmp_ne_u32_e32 vcc, v7, v1
	v_cndmask_b32_e64 v1, 0, 1, vcc
	v_or_b32_e32 v1, v9, v1
	v_add_u32_e32 v9, 0xfffffc10, v6
	v_lshl_or_b32 v6, v9, 12, v0
	v_cmp_gt_i32_e32 vcc, 1, v9
	v_cndmask_b32_e32 v1, v6, v1, vcc
	v_and_b32_e32 v6, 7, v1
	v_cmp_lt_i32_e32 vcc, 5, v6
	v_cmp_eq_u32_e64 s[0:1], 3, v6
	v_lshrrev_b32_e32 v1, 2, v1
	s_or_b64 vcc, s[0:1], vcc
	v_addc_co_u32_e32 v1, vcc, 0, v1, vcc
	v_cmp_gt_i32_e32 vcc, 31, v9
	v_cndmask_b32_e32 v1, v8, v1, vcc
	v_cmp_ne_u32_e32 vcc, 0, v0
	v_cndmask_b32_e64 v0, 0, 1, vcc
	v_lshl_or_b32 v0, v0, 9, v8
	v_cmp_eq_u32_e32 vcc, s10, v9
	v_mad_u64_u32 v[6:7], s[0:1], s8, v48, 0
	v_cndmask_b32_e32 v12, v1, v0, vcc
	ds_read2_b32 v[0:1], v32 offset0:18 offset1:27
	v_lshrrev_b32_e32 v13, 16, v2
	v_mov_b32_e32 v2, v7
	v_mad_u64_u32 v[9:10], s[0:1], s9, v48, v[2:3]
	s_waitcnt lgkmcnt(0)
	v_lshrrev_b32_e32 v2, 16, v1
	v_mul_f16_sdwa v7, v47, v2 dst_sel:DWORD dst_unused:UNUSED_PAD src0_sel:WORD_1 src1_sel:DWORD
	v_fma_f16 v7, v47, v1, v7
	v_cvt_f32_f16_e32 v10, v7
	v_mov_b32_e32 v7, v9
	v_lshlrev_b64 v[4:5], 2, v[4:5]
	v_and_or_b32 v12, v13, s11, v12
	v_cvt_f64_f32_e32 v[9:10], v10
	v_and_b32_e32 v11, 0xffff, v11
	v_lshl_or_b32 v11, v12, 16, v11
	v_mov_b32_e32 v12, s5
	v_mul_f64 v[9:10], v[9:10], s[2:3]
	v_add_co_u32_e32 v13, vcc, s4, v4
	v_addc_co_u32_e32 v12, vcc, v12, v5, vcc
	v_lshlrev_b64 v[4:5], 2, v[6:7]
	v_mul_f16_sdwa v1, v47, v1 dst_sel:DWORD dst_unused:UNUSED_PAD src0_sel:WORD_1 src1_sel:DWORD
	v_add_co_u32_e32 v6, vcc, v13, v4
	v_addc_co_u32_e32 v7, vcc, v12, v5, vcc
	v_and_or_b32 v4, v10, s6, v9
	v_cmp_ne_u32_e32 vcc, 0, v4
	v_fma_f16 v1, v47, v2, -v1
	v_cndmask_b32_e64 v4, 0, 1, vcc
	v_lshrrev_b32_e32 v5, 8, v10
	v_bfe_u32 v9, v10, 20, 11
	v_cvt_f32_f16_e32 v1, v1
	global_store_dword v[6:7], v11, off
	v_and_or_b32 v4, v5, s7, v4
	v_sub_u32_e32 v11, 0x3f1, v9
	v_or_b32_e32 v5, 0x1000, v4
	v_med3_i32 v11, v11, 0, 13
	v_lshrrev_b32_e32 v12, v11, v5
	v_lshlrev_b32_e32 v11, v11, v12
	v_cvt_f64_f32_e32 v[1:2], v1
	v_cmp_ne_u32_e32 vcc, v11, v5
	v_cndmask_b32_e64 v5, 0, 1, vcc
	v_add_u32_e32 v9, 0xfffffc10, v9
	v_or_b32_e32 v5, v12, v5
	v_lshl_or_b32 v11, v9, 12, v4
	v_cmp_gt_i32_e32 vcc, 1, v9
	v_cndmask_b32_e32 v5, v11, v5, vcc
	v_mul_f64 v[1:2], v[1:2], s[2:3]
	v_and_b32_e32 v11, 7, v5
	v_cmp_lt_i32_e32 vcc, 5, v11
	v_cmp_eq_u32_e64 s[0:1], 3, v11
	v_lshrrev_b32_e32 v5, 2, v5
	s_or_b64 vcc, s[0:1], vcc
	v_addc_co_u32_e32 v5, vcc, 0, v5, vcc
	v_cmp_gt_i32_e32 vcc, 31, v9
	v_cndmask_b32_e32 v5, v8, v5, vcc
	v_cmp_ne_u32_e32 vcc, 0, v4
	v_cndmask_b32_e64 v4, 0, 1, vcc
	v_lshl_or_b32 v4, v4, 9, v8
	v_cmp_eq_u32_e32 vcc, s10, v9
	v_and_or_b32 v1, v2, s6, v1
	v_cndmask_b32_e32 v4, v5, v4, vcc
	v_lshrrev_b32_e32 v5, 16, v10
	v_cmp_ne_u32_e32 vcc, 0, v1
	v_and_or_b32 v9, v5, s11, v4
	v_cndmask_b32_e64 v1, 0, 1, vcc
	v_lshrrev_b32_e32 v4, 8, v2
	v_bfe_u32 v5, v2, 20, 11
	v_and_or_b32 v1, v4, s7, v1
	v_sub_u32_e32 v10, 0x3f1, v5
	v_or_b32_e32 v4, 0x1000, v1
	v_med3_i32 v10, v10, 0, 13
	v_lshrrev_b32_e32 v11, v10, v4
	v_lshlrev_b32_e32 v10, v10, v11
	v_cmp_ne_u32_e32 vcc, v10, v4
	v_cndmask_b32_e64 v4, 0, 1, vcc
	v_add_u32_e32 v10, 0xfffffc10, v5
	v_or_b32_e32 v4, v11, v4
	v_lshl_or_b32 v5, v10, 12, v1
	v_cmp_gt_i32_e32 vcc, 1, v10
	v_cndmask_b32_e32 v4, v5, v4, vcc
	v_and_b32_e32 v5, 7, v4
	v_cmp_lt_i32_e32 vcc, 5, v5
	v_cmp_eq_u32_e64 s[0:1], 3, v5
	v_lshrrev_b32_e32 v4, 2, v4
	s_or_b64 vcc, s[0:1], vcc
	v_addc_co_u32_e32 v4, vcc, 0, v4, vcc
	v_cmp_gt_i32_e32 vcc, 31, v10
	v_cndmask_b32_e32 v11, v8, v4, vcc
	ds_read2_b32 v[4:5], v32 offset0:54 offset1:63
	v_cmp_ne_u32_e32 vcc, 0, v1
	v_cndmask_b32_e64 v1, 0, 1, vcc
	v_lshl_or_b32 v1, v1, 9, v8
	v_cmp_eq_u32_e32 vcc, s10, v10
	s_waitcnt lgkmcnt(0)
	v_lshrrev_b32_e32 v10, 16, v4
	v_cndmask_b32_e32 v1, v11, v1, vcc
	v_mul_f16_sdwa v11, v46, v10 dst_sel:DWORD dst_unused:UNUSED_PAD src0_sel:WORD_1 src1_sel:DWORD
	v_fma_f16 v11, v46, v4, v11
	v_cvt_f32_f16_e32 v11, v11
	v_lshrrev_b32_e32 v2, 16, v2
	v_and_or_b32 v1, v2, s11, v1
	v_and_b32_e32 v2, 0xffff, v9
	v_lshl_or_b32 v9, v1, 16, v2
	v_cvt_f64_f32_e32 v[1:2], v11
	s_mul_i32 s0, s9, 0x6c
	s_mul_hi_u32 s4, s8, 0x6c
	s_add_i32 s4, s4, s0
	v_mul_f64 v[1:2], v[1:2], s[2:3]
	s_mul_i32 s5, s8, 0x6c
	v_mov_b32_e32 v11, s4
	v_add_co_u32_e32 v6, vcc, s5, v6
	v_addc_co_u32_e32 v7, vcc, v7, v11, vcc
	global_store_dword v[6:7], v9, off
	v_and_or_b32 v1, v2, s6, v1
	v_cmp_ne_u32_e32 vcc, 0, v1
	v_cndmask_b32_e64 v1, 0, 1, vcc
	v_lshrrev_b32_e32 v9, 8, v2
	v_bfe_u32 v11, v2, 20, 11
	v_and_or_b32 v1, v9, s7, v1
	v_sub_u32_e32 v12, 0x3f1, v11
	v_or_b32_e32 v9, 0x1000, v1
	v_med3_i32 v12, v12, 0, 13
	v_lshrrev_b32_e32 v13, v12, v9
	v_lshlrev_b32_e32 v12, v12, v13
	v_mul_f16_sdwa v4, v46, v4 dst_sel:DWORD dst_unused:UNUSED_PAD src0_sel:WORD_1 src1_sel:DWORD
	v_cmp_ne_u32_e32 vcc, v12, v9
	v_fma_f16 v4, v46, v10, -v4
	v_cndmask_b32_e64 v9, 0, 1, vcc
	v_add_u32_e32 v11, 0xfffffc10, v11
	v_cvt_f32_f16_e32 v4, v4
	v_or_b32_e32 v9, v13, v9
	v_lshl_or_b32 v12, v11, 12, v1
	v_cmp_gt_i32_e32 vcc, 1, v11
	v_cndmask_b32_e32 v9, v12, v9, vcc
	v_and_b32_e32 v12, 7, v9
	v_cmp_lt_i32_e32 vcc, 5, v12
	v_cmp_eq_u32_e64 s[0:1], 3, v12
	v_lshrrev_b32_e32 v12, 2, v9
	v_cvt_f64_f32_e32 v[9:10], v4
	s_or_b64 vcc, s[0:1], vcc
	v_addc_co_u32_e32 v4, vcc, 0, v12, vcc
	v_mul_f64 v[9:10], v[9:10], s[2:3]
	v_cmp_gt_i32_e32 vcc, 31, v11
	v_cndmask_b32_e32 v4, v8, v4, vcc
	v_cmp_ne_u32_e32 vcc, 0, v1
	v_cndmask_b32_e64 v1, 0, 1, vcc
	v_lshl_or_b32 v1, v1, 9, v8
	v_cmp_eq_u32_e32 vcc, s10, v11
	v_cndmask_b32_e32 v1, v4, v1, vcc
	v_lshrrev_b32_e32 v2, 16, v2
	v_and_or_b32 v4, v2, s11, v1
	v_and_or_b32 v1, v10, s6, v9
	v_cmp_ne_u32_e32 vcc, 0, v1
	v_cndmask_b32_e64 v1, 0, 1, vcc
	v_lshrrev_b32_e32 v2, 8, v10
	v_and_or_b32 v9, v2, s7, v1
	v_bfe_u32 v2, v10, 20, 11
	v_sub_u32_e32 v11, 0x3f1, v2
	v_or_b32_e32 v1, 0x1000, v9
	v_med3_i32 v11, v11, 0, 13
	v_lshrrev_b32_e32 v12, v11, v1
	v_lshlrev_b32_e32 v11, v11, v12
	v_cmp_ne_u32_e32 vcc, v11, v1
	v_cndmask_b32_e64 v1, 0, 1, vcc
	v_add_u32_e32 v11, 0xfffffc10, v2
	v_or_b32_e32 v1, v12, v1
	v_lshl_or_b32 v2, v11, 12, v9
	v_cmp_gt_i32_e32 vcc, 1, v11
	v_cndmask_b32_e32 v1, v2, v1, vcc
	v_and_b32_e32 v2, 7, v1
	v_cmp_lt_i32_e32 vcc, 5, v2
	v_cmp_eq_u32_e64 s[0:1], 3, v2
	v_lshrrev_b32_e32 v1, 2, v1
	s_or_b64 vcc, s[0:1], vcc
	v_addc_co_u32_e32 v12, vcc, 0, v1, vcc
	ds_read2_b32 v[1:2], v32 offset0:72 offset1:81
	v_cmp_gt_i32_e32 vcc, 31, v11
	v_cndmask_b32_e32 v12, v8, v12, vcc
	v_cmp_ne_u32_e32 vcc, 0, v9
	v_cndmask_b32_e64 v9, 0, 1, vcc
	s_waitcnt lgkmcnt(0)
	v_lshrrev_b32_e32 v13, 16, v2
	v_mul_f16_sdwa v14, v45, v13 dst_sel:DWORD dst_unused:UNUSED_PAD src0_sel:WORD_1 src1_sel:DWORD
	v_fma_f16 v14, v45, v2, v14
	v_cvt_f32_f16_e32 v14, v14
	v_lshl_or_b32 v9, v9, 9, v8
	v_cmp_eq_u32_e32 vcc, s10, v11
	v_cndmask_b32_e32 v9, v12, v9, vcc
	v_cvt_f64_f32_e32 v[11:12], v14
	v_lshrrev_b32_e32 v10, 16, v10
	v_and_or_b32 v14, v10, s11, v9
	v_and_b32_e32 v4, 0xffff, v4
	v_mul_f64 v[9:10], v[11:12], s[2:3]
	v_mov_b32_e32 v12, s4
	v_add_co_u32_e32 v11, vcc, s5, v6
	v_lshl_or_b32 v4, v14, 16, v4
	v_addc_co_u32_e32 v12, vcc, v7, v12, vcc
	global_store_dword v[11:12], v4, off
	v_and_or_b32 v4, v10, s6, v9
	v_cmp_ne_u32_e32 vcc, 0, v4
	v_cndmask_b32_e64 v4, 0, 1, vcc
	v_lshrrev_b32_e32 v6, 8, v10
	v_bfe_u32 v7, v10, 20, 11
	v_and_or_b32 v4, v6, s7, v4
	v_sub_u32_e32 v9, 0x3f1, v7
	v_or_b32_e32 v6, 0x1000, v4
	v_med3_i32 v9, v9, 0, 13
	v_lshrrev_b32_e32 v14, v9, v6
	v_lshlrev_b32_e32 v9, v9, v14
	v_mul_f16_sdwa v2, v45, v2 dst_sel:DWORD dst_unused:UNUSED_PAD src0_sel:WORD_1 src1_sel:DWORD
	v_cmp_ne_u32_e32 vcc, v9, v6
	v_fma_f16 v2, v45, v13, -v2
	v_cndmask_b32_e64 v6, 0, 1, vcc
	v_add_u32_e32 v9, 0xfffffc10, v7
	v_cvt_f32_f16_e32 v2, v2
	v_or_b32_e32 v6, v14, v6
	v_lshl_or_b32 v7, v9, 12, v4
	v_cmp_gt_i32_e32 vcc, 1, v9
	v_cndmask_b32_e32 v6, v7, v6, vcc
	v_and_b32_e32 v7, 7, v6
	v_cmp_lt_i32_e32 vcc, 5, v7
	v_cmp_eq_u32_e64 s[0:1], 3, v7
	v_lshrrev_b32_e32 v13, 2, v6
	v_cvt_f64_f32_e32 v[6:7], v2
	s_or_b64 vcc, s[0:1], vcc
	v_addc_co_u32_e32 v2, vcc, 0, v13, vcc
	v_mul_f64 v[13:14], v[6:7], s[2:3]
	v_cmp_gt_i32_e32 vcc, 31, v9
	v_cndmask_b32_e32 v2, v8, v2, vcc
	v_cmp_ne_u32_e32 vcc, 0, v4
	v_cndmask_b32_e64 v4, 0, 1, vcc
	v_lshl_or_b32 v4, v4, 9, v8
	v_cmp_eq_u32_e32 vcc, s10, v9
	v_cndmask_b32_e32 v2, v2, v4, vcc
	v_lshrrev_b32_e32 v4, 16, v10
	v_and_or_b32 v2, v4, s11, v2
	v_and_or_b32 v4, v14, s6, v13
	v_cmp_ne_u32_e32 vcc, 0, v4
	v_cndmask_b32_e64 v4, 0, 1, vcc
	v_lshrrev_b32_e32 v6, 8, v14
	v_bfe_u32 v7, v14, 20, 11
	v_and_or_b32 v4, v6, s7, v4
	v_sub_u32_e32 v9, 0x3f1, v7
	v_or_b32_e32 v6, 0x1000, v4
	v_med3_i32 v9, v9, 0, 13
	v_lshrrev_b32_e32 v10, v9, v6
	v_lshlrev_b32_e32 v9, v9, v10
	v_cmp_ne_u32_e32 vcc, v9, v6
	v_cndmask_b32_e64 v6, 0, 1, vcc
	v_add_u32_e32 v9, 0xfffffc10, v7
	v_or_b32_e32 v6, v10, v6
	v_lshl_or_b32 v7, v9, 12, v4
	v_cmp_gt_i32_e32 vcc, 1, v9
	v_cndmask_b32_e32 v6, v7, v6, vcc
	v_and_b32_e32 v7, 7, v6
	v_cmp_lt_i32_e32 vcc, 5, v7
	v_cmp_eq_u32_e64 s[0:1], 3, v7
	v_lshrrev_b32_e32 v6, 2, v6
	s_or_b64 vcc, s[0:1], vcc
	v_addc_co_u32_e32 v10, vcc, 0, v6, vcc
	ds_read2_b32 v[6:7], v32 offset0:108 offset1:117
	v_cmp_gt_i32_e32 vcc, 31, v9
	v_cndmask_b32_e32 v10, v8, v10, vcc
	v_cmp_ne_u32_e32 vcc, 0, v4
	v_cndmask_b32_e64 v4, 0, 1, vcc
	s_waitcnt lgkmcnt(0)
	v_lshrrev_b32_e32 v13, 16, v6
	v_mul_f16_sdwa v15, v44, v13 dst_sel:DWORD dst_unused:UNUSED_PAD src0_sel:WORD_1 src1_sel:DWORD
	v_fma_f16 v15, v44, v6, v15
	v_cvt_f32_f16_e32 v15, v15
	v_lshl_or_b32 v4, v4, 9, v8
	v_cmp_eq_u32_e32 vcc, s10, v9
	v_cndmask_b32_e32 v4, v10, v4, vcc
	v_cvt_f64_f32_e32 v[9:10], v15
	v_lshrrev_b32_e32 v14, 16, v14
	v_and_or_b32 v4, v14, s11, v4
	v_and_b32_e32 v2, 0xffff, v2
	v_mul_f64 v[9:10], v[9:10], s[2:3]
	v_lshl_or_b32 v2, v4, 16, v2
	v_mov_b32_e32 v4, s4
	v_add_co_u32_e32 v11, vcc, s5, v11
	v_addc_co_u32_e32 v12, vcc, v12, v4, vcc
	global_store_dword v[11:12], v2, off
	v_and_or_b32 v2, v10, s6, v9
	v_cmp_ne_u32_e32 vcc, 0, v2
	v_cndmask_b32_e64 v2, 0, 1, vcc
	v_lshrrev_b32_e32 v4, 8, v10
	v_bfe_u32 v9, v10, 20, 11
	v_and_or_b32 v2, v4, s7, v2
	v_sub_u32_e32 v14, 0x3f1, v9
	v_or_b32_e32 v4, 0x1000, v2
	v_med3_i32 v14, v14, 0, 13
	v_lshrrev_b32_e32 v15, v14, v4
	v_lshlrev_b32_e32 v14, v14, v15
	v_mul_f16_sdwa v6, v44, v6 dst_sel:DWORD dst_unused:UNUSED_PAD src0_sel:WORD_1 src1_sel:DWORD
	v_cmp_ne_u32_e32 vcc, v14, v4
	v_fma_f16 v6, v44, v13, -v6
	v_cndmask_b32_e64 v4, 0, 1, vcc
	v_add_u32_e32 v9, 0xfffffc10, v9
	v_cvt_f32_f16_e32 v6, v6
	v_or_b32_e32 v4, v15, v4
	v_lshl_or_b32 v14, v9, 12, v2
	v_cmp_gt_i32_e32 vcc, 1, v9
	v_cndmask_b32_e32 v4, v14, v4, vcc
	v_and_b32_e32 v14, 7, v4
	v_cmp_lt_i32_e32 vcc, 5, v14
	v_cmp_eq_u32_e64 s[0:1], 3, v14
	v_cvt_f64_f32_e32 v[13:14], v6
	v_lshrrev_b32_e32 v4, 2, v4
	s_or_b64 vcc, s[0:1], vcc
	v_addc_co_u32_e32 v4, vcc, 0, v4, vcc
	v_mul_f64 v[13:14], v[13:14], s[2:3]
	v_cmp_gt_i32_e32 vcc, 31, v9
	v_cndmask_b32_e32 v4, v8, v4, vcc
	v_cmp_ne_u32_e32 vcc, 0, v2
	v_cndmask_b32_e64 v2, 0, 1, vcc
	v_lshl_or_b32 v2, v2, 9, v8
	v_cmp_eq_u32_e32 vcc, s10, v9
	v_cndmask_b32_e32 v2, v4, v2, vcc
	v_lshrrev_b32_e32 v4, 16, v10
	v_and_or_b32 v2, v4, s11, v2
	v_and_or_b32 v4, v14, s6, v13
	v_cmp_ne_u32_e32 vcc, 0, v4
	v_cndmask_b32_e64 v4, 0, 1, vcc
	v_lshrrev_b32_e32 v6, 8, v14
	v_bfe_u32 v9, v14, 20, 11
	v_and_or_b32 v4, v6, s7, v4
	v_sub_u32_e32 v10, 0x3f1, v9
	v_or_b32_e32 v6, 0x1000, v4
	v_med3_i32 v10, v10, 0, 13
	v_lshrrev_b32_e32 v13, v10, v6
	v_lshlrev_b32_e32 v10, v10, v13
	v_cmp_ne_u32_e32 vcc, v10, v6
	v_cndmask_b32_e64 v6, 0, 1, vcc
	v_add_u32_e32 v9, 0xfffffc10, v9
	v_or_b32_e32 v6, v13, v6
	v_lshl_or_b32 v10, v9, 12, v4
	v_cmp_gt_i32_e32 vcc, 1, v9
	v_cndmask_b32_e32 v6, v10, v6, vcc
	v_and_b32_e32 v10, 7, v6
	v_lshrrev_b32_e32 v13, 16, v3
	v_cmp_lt_i32_e32 vcc, 5, v10
	v_cmp_eq_u32_e64 s[0:1], 3, v10
	v_mul_f16_sdwa v10, v43, v13 dst_sel:DWORD dst_unused:UNUSED_PAD src0_sel:WORD_1 src1_sel:DWORD
	v_fma_f16 v10, v43, v3, v10
	v_lshrrev_b32_e32 v6, 2, v6
	s_or_b64 vcc, s[0:1], vcc
	v_cvt_f32_f16_e32 v10, v10
	v_addc_co_u32_e32 v6, vcc, 0, v6, vcc
	v_cmp_gt_i32_e32 vcc, 31, v9
	v_cndmask_b32_e32 v6, v8, v6, vcc
	v_cmp_ne_u32_e32 vcc, 0, v4
	v_cndmask_b32_e64 v4, 0, 1, vcc
	v_cmp_eq_u32_e32 vcc, s10, v9
	v_cvt_f64_f32_e32 v[9:10], v10
	v_lshl_or_b32 v4, v4, 9, v8
	v_cndmask_b32_e32 v4, v6, v4, vcc
	v_lshrrev_b32_e32 v6, 16, v14
	v_mul_f64 v[9:10], v[9:10], s[2:3]
	v_and_or_b32 v4, v6, s11, v4
	v_and_b32_e32 v2, 0xffff, v2
	v_lshl_or_b32 v2, v4, 16, v2
	v_mov_b32_e32 v4, s4
	v_add_co_u32_e32 v11, vcc, s5, v11
	v_addc_co_u32_e32 v12, vcc, v12, v4, vcc
	global_store_dword v[11:12], v2, off
	v_and_or_b32 v2, v10, s6, v9
	v_cmp_ne_u32_e32 vcc, 0, v2
	v_cndmask_b32_e64 v2, 0, 1, vcc
	v_lshrrev_b32_e32 v4, 8, v10
	v_and_or_b32 v6, v4, s7, v2
	v_bfe_u32 v4, v10, 20, 11
	v_sub_u32_e32 v9, 0x3f1, v4
	v_or_b32_e32 v2, 0x1000, v6
	v_med3_i32 v9, v9, 0, 13
	v_lshrrev_b32_e32 v14, v9, v2
	v_lshlrev_b32_e32 v9, v9, v14
	v_mul_f16_sdwa v3, v43, v3 dst_sel:DWORD dst_unused:UNUSED_PAD src0_sel:WORD_1 src1_sel:DWORD
	v_cmp_ne_u32_e32 vcc, v9, v2
	v_fma_f16 v3, v43, v13, -v3
	v_cndmask_b32_e64 v2, 0, 1, vcc
	v_add_u32_e32 v9, 0xfffffc10, v4
	v_cvt_f32_f16_e32 v3, v3
	v_or_b32_e32 v2, v14, v2
	v_lshl_or_b32 v4, v9, 12, v6
	v_cmp_gt_i32_e32 vcc, 1, v9
	v_cndmask_b32_e32 v2, v4, v2, vcc
	v_and_b32_e32 v4, 7, v2
	v_cmp_lt_i32_e32 vcc, 5, v4
	v_cmp_eq_u32_e64 s[0:1], 3, v4
	v_lshrrev_b32_e32 v4, 2, v2
	v_cvt_f64_f32_e32 v[2:3], v3
	s_or_b64 vcc, s[0:1], vcc
	v_addc_co_u32_e32 v4, vcc, 0, v4, vcc
	v_cmp_gt_i32_e32 vcc, 31, v9
	v_cndmask_b32_e32 v13, v8, v4, vcc
	v_mul_f64 v[3:4], v[2:3], s[2:3]
	v_cmp_ne_u32_e32 vcc, 0, v6
	v_cndmask_b32_e64 v2, 0, 1, vcc
	v_lshl_or_b32 v2, v2, 9, v8
	v_cmp_eq_u32_e32 vcc, s10, v9
	v_cndmask_b32_e32 v2, v13, v2, vcc
	v_lshrrev_b32_e32 v6, 16, v10
	v_and_or_b32 v6, v6, s11, v2
	v_and_or_b32 v2, v4, s6, v3
	v_cmp_ne_u32_e32 vcc, 0, v2
	v_cndmask_b32_e64 v2, 0, 1, vcc
	v_lshrrev_b32_e32 v3, 8, v4
	v_and_or_b32 v9, v3, s7, v2
	v_bfe_u32 v3, v4, 20, 11
	v_sub_u32_e32 v10, 0x3f1, v3
	v_or_b32_e32 v2, 0x1000, v9
	v_med3_i32 v10, v10, 0, 13
	v_lshrrev_b32_e32 v13, v10, v2
	v_lshlrev_b32_e32 v10, v10, v13
	v_cmp_ne_u32_e32 vcc, v10, v2
	v_cndmask_b32_e64 v2, 0, 1, vcc
	v_add_u32_e32 v10, 0xfffffc10, v3
	v_or_b32_e32 v2, v13, v2
	v_lshl_or_b32 v3, v10, 12, v9
	v_cmp_gt_i32_e32 vcc, 1, v10
	v_cndmask_b32_e32 v2, v3, v2, vcc
	v_and_b32_e32 v3, 7, v2
	v_cmp_lt_i32_e32 vcc, 5, v3
	v_cmp_eq_u32_e64 s[0:1], 3, v3
	v_lshrrev_b32_e32 v2, 2, v2
	s_or_b64 vcc, s[0:1], vcc
	v_addc_co_u32_e32 v13, vcc, 0, v2, vcc
	ds_read2_b32 v[2:3], v32 offset0:36 offset1:45
	v_cmp_gt_i32_e32 vcc, 31, v10
	v_cndmask_b32_e32 v13, v8, v13, vcc
	v_cmp_ne_u32_e32 vcc, 0, v9
	v_cndmask_b32_e64 v9, 0, 1, vcc
	s_waitcnt lgkmcnt(0)
	v_lshrrev_b32_e32 v14, 16, v2
	v_mul_f16_sdwa v15, v42, v14 dst_sel:DWORD dst_unused:UNUSED_PAD src0_sel:WORD_1 src1_sel:DWORD
	v_fma_f16 v15, v42, v2, v15
	v_cvt_f32_f16_e32 v15, v15
	v_lshl_or_b32 v9, v9, 9, v8
	v_cmp_eq_u32_e32 vcc, s10, v10
	v_cndmask_b32_e32 v13, v13, v9, vcc
	v_cvt_f64_f32_e32 v[9:10], v15
	v_mad_u64_u32 v[11:12], s[0:1], s8, v35, v[11:12]
	v_lshrrev_b32_e32 v4, 16, v4
	v_mul_f64 v[9:10], v[9:10], s[2:3]
	s_mul_i32 s0, s9, 0xfffffe74
	v_and_or_b32 v4, v4, s11, v13
	v_and_b32_e32 v6, 0xffff, v6
	s_sub_i32 s9, s0, s8
	v_lshl_or_b32 v4, v4, 16, v6
	v_add_u32_e32 v12, s9, v12
	global_store_dword v[11:12], v4, off
	v_and_or_b32 v4, v10, s6, v9
	v_cmp_ne_u32_e32 vcc, 0, v4
	v_cndmask_b32_e64 v4, 0, 1, vcc
	v_lshrrev_b32_e32 v6, 8, v10
	v_bfe_u32 v9, v10, 20, 11
	v_and_or_b32 v4, v6, s7, v4
	v_sub_u32_e32 v13, 0x3f1, v9
	v_or_b32_e32 v6, 0x1000, v4
	v_med3_i32 v13, v13, 0, 13
	v_lshrrev_b32_e32 v15, v13, v6
	v_lshlrev_b32_e32 v13, v13, v15
	v_mul_f16_sdwa v2, v42, v2 dst_sel:DWORD dst_unused:UNUSED_PAD src0_sel:WORD_1 src1_sel:DWORD
	v_cmp_ne_u32_e32 vcc, v13, v6
	v_fma_f16 v2, v42, v14, -v2
	v_cndmask_b32_e64 v6, 0, 1, vcc
	v_add_u32_e32 v9, 0xfffffc10, v9
	v_cvt_f32_f16_e32 v2, v2
	v_or_b32_e32 v6, v15, v6
	v_lshl_or_b32 v13, v9, 12, v4
	v_cmp_gt_i32_e32 vcc, 1, v9
	v_cndmask_b32_e32 v6, v13, v6, vcc
	v_and_b32_e32 v13, 7, v6
	v_cmp_lt_i32_e32 vcc, 5, v13
	v_cmp_eq_u32_e64 s[0:1], 3, v13
	v_cvt_f64_f32_e32 v[13:14], v2
	v_lshrrev_b32_e32 v6, 2, v6
	s_or_b64 vcc, s[0:1], vcc
	v_addc_co_u32_e32 v2, vcc, 0, v6, vcc
	v_mul_f64 v[13:14], v[13:14], s[2:3]
	v_cmp_gt_i32_e32 vcc, 31, v9
	v_cndmask_b32_e32 v2, v8, v2, vcc
	v_cmp_ne_u32_e32 vcc, 0, v4
	v_cndmask_b32_e64 v4, 0, 1, vcc
	v_lshl_or_b32 v4, v4, 9, v8
	v_cmp_eq_u32_e32 vcc, s10, v9
	v_cndmask_b32_e32 v2, v2, v4, vcc
	v_lshrrev_b32_e32 v4, 16, v10
	v_and_or_b32 v2, v4, s11, v2
	v_and_or_b32 v4, v14, s6, v13
	v_cmp_ne_u32_e32 vcc, 0, v4
	v_cndmask_b32_e64 v4, 0, 1, vcc
	v_lshrrev_b32_e32 v6, 8, v14
	v_bfe_u32 v9, v14, 20, 11
	v_and_or_b32 v4, v6, s7, v4
	v_sub_u32_e32 v10, 0x3f1, v9
	v_or_b32_e32 v6, 0x1000, v4
	v_med3_i32 v10, v10, 0, 13
	v_lshrrev_b32_e32 v13, v10, v6
	v_lshlrev_b32_e32 v10, v10, v13
	v_cmp_ne_u32_e32 vcc, v10, v6
	v_cndmask_b32_e64 v6, 0, 1, vcc
	v_add_u32_e32 v9, 0xfffffc10, v9
	v_or_b32_e32 v6, v13, v6
	v_lshl_or_b32 v10, v9, 12, v4
	v_cmp_gt_i32_e32 vcc, 1, v9
	v_cndmask_b32_e32 v6, v10, v6, vcc
	v_and_b32_e32 v10, 7, v6
	v_lshrrev_b32_e32 v13, 16, v5
	v_cmp_lt_i32_e32 vcc, 5, v10
	v_cmp_eq_u32_e64 s[0:1], 3, v10
	v_mul_f16_sdwa v10, v40, v13 dst_sel:DWORD dst_unused:UNUSED_PAD src0_sel:WORD_1 src1_sel:DWORD
	v_fma_f16 v10, v40, v5, v10
	v_lshrrev_b32_e32 v6, 2, v6
	s_or_b64 vcc, s[0:1], vcc
	v_cvt_f32_f16_e32 v10, v10
	v_addc_co_u32_e32 v6, vcc, 0, v6, vcc
	v_cmp_gt_i32_e32 vcc, 31, v9
	v_cndmask_b32_e32 v6, v8, v6, vcc
	v_cmp_ne_u32_e32 vcc, 0, v4
	v_cndmask_b32_e64 v4, 0, 1, vcc
	v_cmp_eq_u32_e32 vcc, s10, v9
	v_cvt_f64_f32_e32 v[9:10], v10
	v_lshl_or_b32 v4, v4, 9, v8
	v_cndmask_b32_e32 v4, v6, v4, vcc
	v_lshrrev_b32_e32 v6, 16, v14
	v_mul_f64 v[9:10], v[9:10], s[2:3]
	v_and_or_b32 v4, v6, s11, v4
	v_and_b32_e32 v2, 0xffff, v2
	v_lshl_or_b32 v2, v4, 16, v2
	v_mov_b32_e32 v4, s4
	v_add_co_u32_e32 v11, vcc, s5, v11
	v_addc_co_u32_e32 v12, vcc, v12, v4, vcc
	global_store_dword v[11:12], v2, off
	v_and_or_b32 v2, v10, s6, v9
	v_cmp_ne_u32_e32 vcc, 0, v2
	v_cndmask_b32_e64 v2, 0, 1, vcc
	v_lshrrev_b32_e32 v4, 8, v10
	v_bfe_u32 v6, v10, 20, 11
	v_and_or_b32 v2, v4, s7, v2
	v_sub_u32_e32 v9, 0x3f1, v6
	v_or_b32_e32 v4, 0x1000, v2
	v_med3_i32 v9, v9, 0, 13
	v_lshrrev_b32_e32 v14, v9, v4
	v_lshlrev_b32_e32 v9, v9, v14
	v_mul_f16_sdwa v5, v40, v5 dst_sel:DWORD dst_unused:UNUSED_PAD src0_sel:WORD_1 src1_sel:DWORD
	v_cmp_ne_u32_e32 vcc, v9, v4
	v_fma_f16 v5, v40, v13, -v5
	v_cndmask_b32_e64 v4, 0, 1, vcc
	v_add_u32_e32 v9, 0xfffffc10, v6
	v_cvt_f32_f16_e32 v5, v5
	v_or_b32_e32 v4, v14, v4
	v_lshl_or_b32 v6, v9, 12, v2
	v_cmp_gt_i32_e32 vcc, 1, v9
	v_cndmask_b32_e32 v4, v6, v4, vcc
	v_and_b32_e32 v6, 7, v4
	v_cmp_lt_i32_e32 vcc, 5, v6
	v_cmp_eq_u32_e64 s[0:1], 3, v6
	v_lshrrev_b32_e32 v6, 2, v4
	v_cvt_f64_f32_e32 v[4:5], v5
	s_or_b64 vcc, s[0:1], vcc
	v_addc_co_u32_e32 v6, vcc, 0, v6, vcc
	v_cmp_gt_i32_e32 vcc, 31, v9
	v_cndmask_b32_e32 v13, v8, v6, vcc
	v_mul_f64 v[5:6], v[4:5], s[2:3]
	v_cmp_ne_u32_e32 vcc, 0, v2
	v_cndmask_b32_e64 v2, 0, 1, vcc
	v_lshl_or_b32 v2, v2, 9, v8
	v_cmp_eq_u32_e32 vcc, s10, v9
	v_cndmask_b32_e32 v2, v13, v2, vcc
	v_lshrrev_b32_e32 v4, 16, v10
	v_and_or_b32 v2, v4, s11, v2
	v_and_or_b32 v4, v6, s6, v5
	v_cmp_ne_u32_e32 vcc, 0, v4
	v_cndmask_b32_e64 v4, 0, 1, vcc
	v_lshrrev_b32_e32 v5, 8, v6
	v_and_or_b32 v9, v5, s7, v4
	v_bfe_u32 v5, v6, 20, 11
	v_sub_u32_e32 v10, 0x3f1, v5
	v_or_b32_e32 v4, 0x1000, v9
	v_med3_i32 v10, v10, 0, 13
	v_lshrrev_b32_e32 v13, v10, v4
	v_lshlrev_b32_e32 v10, v10, v13
	v_cmp_ne_u32_e32 vcc, v10, v4
	v_cndmask_b32_e64 v4, 0, 1, vcc
	v_add_u32_e32 v10, 0xfffffc10, v5
	v_or_b32_e32 v4, v13, v4
	v_lshl_or_b32 v5, v10, 12, v9
	v_cmp_gt_i32_e32 vcc, 1, v10
	v_cndmask_b32_e32 v4, v5, v4, vcc
	v_and_b32_e32 v5, 7, v4
	v_cmp_lt_i32_e32 vcc, 5, v5
	v_cmp_eq_u32_e64 s[0:1], 3, v5
	v_lshrrev_b32_e32 v4, 2, v4
	s_or_b64 vcc, s[0:1], vcc
	v_addc_co_u32_e32 v13, vcc, 0, v4, vcc
	ds_read2_b32 v[4:5], v32 offset0:90 offset1:99
	v_cmp_gt_i32_e32 vcc, 31, v10
	v_cndmask_b32_e32 v13, v8, v13, vcc
	v_cmp_ne_u32_e32 vcc, 0, v9
	v_cndmask_b32_e64 v9, 0, 1, vcc
	s_waitcnt lgkmcnt(0)
	v_lshrrev_b32_e32 v14, 16, v4
	v_mul_f16_sdwa v15, v41, v14 dst_sel:DWORD dst_unused:UNUSED_PAD src0_sel:WORD_1 src1_sel:DWORD
	v_fma_f16 v15, v41, v4, v15
	v_cvt_f32_f16_e32 v15, v15
	v_lshl_or_b32 v9, v9, 9, v8
	v_cmp_eq_u32_e32 vcc, s10, v10
	v_cndmask_b32_e32 v13, v13, v9, vcc
	v_cvt_f64_f32_e32 v[9:10], v15
	v_lshrrev_b32_e32 v6, 16, v6
	v_and_or_b32 v6, v6, s11, v13
	v_and_b32_e32 v2, 0xffff, v2
	v_mul_f64 v[9:10], v[9:10], s[2:3]
	v_lshl_or_b32 v2, v6, 16, v2
	v_mov_b32_e32 v6, s4
	v_add_co_u32_e32 v11, vcc, s5, v11
	v_addc_co_u32_e32 v12, vcc, v12, v6, vcc
	global_store_dword v[11:12], v2, off
	v_and_or_b32 v2, v10, s6, v9
	v_cmp_ne_u32_e32 vcc, 0, v2
	v_cndmask_b32_e64 v2, 0, 1, vcc
	v_lshrrev_b32_e32 v6, 8, v10
	v_bfe_u32 v9, v10, 20, 11
	v_and_or_b32 v2, v6, s7, v2
	v_sub_u32_e32 v13, 0x3f1, v9
	v_or_b32_e32 v6, 0x1000, v2
	v_med3_i32 v13, v13, 0, 13
	v_lshrrev_b32_e32 v15, v13, v6
	v_lshlrev_b32_e32 v13, v13, v15
	v_mul_f16_sdwa v4, v41, v4 dst_sel:DWORD dst_unused:UNUSED_PAD src0_sel:WORD_1 src1_sel:DWORD
	v_cmp_ne_u32_e32 vcc, v13, v6
	v_fma_f16 v4, v41, v14, -v4
	v_cndmask_b32_e64 v6, 0, 1, vcc
	v_add_u32_e32 v9, 0xfffffc10, v9
	v_cvt_f32_f16_e32 v4, v4
	v_or_b32_e32 v6, v15, v6
	v_lshl_or_b32 v13, v9, 12, v2
	v_cmp_gt_i32_e32 vcc, 1, v9
	v_cndmask_b32_e32 v6, v13, v6, vcc
	v_and_b32_e32 v13, 7, v6
	v_cmp_lt_i32_e32 vcc, 5, v13
	v_cmp_eq_u32_e64 s[0:1], 3, v13
	v_cvt_f64_f32_e32 v[13:14], v4
	v_lshrrev_b32_e32 v6, 2, v6
	s_or_b64 vcc, s[0:1], vcc
	v_addc_co_u32_e32 v4, vcc, 0, v6, vcc
	v_mul_f64 v[13:14], v[13:14], s[2:3]
	v_cmp_gt_i32_e32 vcc, 31, v9
	v_cndmask_b32_e32 v4, v8, v4, vcc
	v_cmp_ne_u32_e32 vcc, 0, v2
	v_cndmask_b32_e64 v2, 0, 1, vcc
	v_lshl_or_b32 v2, v2, 9, v8
	v_cmp_eq_u32_e32 vcc, s10, v9
	v_cndmask_b32_e32 v2, v4, v2, vcc
	v_lshrrev_b32_e32 v4, 16, v10
	v_and_or_b32 v2, v4, s11, v2
	v_and_or_b32 v4, v14, s6, v13
	v_cmp_ne_u32_e32 vcc, 0, v4
	v_cndmask_b32_e64 v4, 0, 1, vcc
	v_lshrrev_b32_e32 v6, 8, v14
	v_bfe_u32 v9, v14, 20, 11
	v_and_or_b32 v4, v6, s7, v4
	v_sub_u32_e32 v10, 0x3f1, v9
	v_or_b32_e32 v6, 0x1000, v4
	v_med3_i32 v10, v10, 0, 13
	v_lshrrev_b32_e32 v13, v10, v6
	v_lshlrev_b32_e32 v10, v10, v13
	v_cmp_ne_u32_e32 vcc, v10, v6
	v_cndmask_b32_e64 v6, 0, 1, vcc
	v_add_u32_e32 v9, 0xfffffc10, v9
	v_or_b32_e32 v6, v13, v6
	v_lshl_or_b32 v10, v9, 12, v4
	v_cmp_gt_i32_e32 vcc, 1, v9
	v_cndmask_b32_e32 v6, v10, v6, vcc
	v_and_b32_e32 v10, 7, v6
	v_lshrrev_b32_e32 v13, 16, v7
	v_cmp_lt_i32_e32 vcc, 5, v10
	v_cmp_eq_u32_e64 s[0:1], 3, v10
	v_mul_f16_sdwa v10, v39, v13 dst_sel:DWORD dst_unused:UNUSED_PAD src0_sel:WORD_1 src1_sel:DWORD
	v_fma_f16 v10, v39, v7, v10
	v_lshrrev_b32_e32 v6, 2, v6
	s_or_b64 vcc, s[0:1], vcc
	v_cvt_f32_f16_e32 v10, v10
	v_addc_co_u32_e32 v6, vcc, 0, v6, vcc
	v_cmp_gt_i32_e32 vcc, 31, v9
	v_cndmask_b32_e32 v6, v8, v6, vcc
	v_cmp_ne_u32_e32 vcc, 0, v4
	v_cndmask_b32_e64 v4, 0, 1, vcc
	v_cmp_eq_u32_e32 vcc, s10, v9
	v_cvt_f64_f32_e32 v[9:10], v10
	v_lshl_or_b32 v4, v4, 9, v8
	v_cndmask_b32_e32 v4, v6, v4, vcc
	v_lshrrev_b32_e32 v6, 16, v14
	v_mul_f64 v[9:10], v[9:10], s[2:3]
	v_and_or_b32 v4, v6, s11, v4
	v_and_b32_e32 v2, 0xffff, v2
	v_lshl_or_b32 v2, v4, 16, v2
	v_mov_b32_e32 v4, s4
	v_add_co_u32_e32 v11, vcc, s5, v11
	v_addc_co_u32_e32 v12, vcc, v12, v4, vcc
	global_store_dword v[11:12], v2, off
	v_and_or_b32 v2, v10, s6, v9
	v_cmp_ne_u32_e32 vcc, 0, v2
	v_cndmask_b32_e64 v2, 0, 1, vcc
	v_lshrrev_b32_e32 v4, 8, v10
	v_bfe_u32 v6, v10, 20, 11
	v_and_or_b32 v2, v4, s7, v2
	v_sub_u32_e32 v9, 0x3f1, v6
	v_or_b32_e32 v4, 0x1000, v2
	v_med3_i32 v9, v9, 0, 13
	v_lshrrev_b32_e32 v14, v9, v4
	v_lshlrev_b32_e32 v9, v9, v14
	v_mul_f16_sdwa v7, v39, v7 dst_sel:DWORD dst_unused:UNUSED_PAD src0_sel:WORD_1 src1_sel:DWORD
	v_cmp_ne_u32_e32 vcc, v9, v4
	v_fma_f16 v7, v39, v13, -v7
	v_cndmask_b32_e64 v4, 0, 1, vcc
	v_add_u32_e32 v9, 0xfffffc10, v6
	v_cvt_f32_f16_e32 v7, v7
	v_or_b32_e32 v4, v14, v4
	v_lshl_or_b32 v6, v9, 12, v2
	v_cmp_gt_i32_e32 vcc, 1, v9
	v_cndmask_b32_e32 v4, v6, v4, vcc
	v_and_b32_e32 v6, 7, v4
	v_cmp_lt_i32_e32 vcc, 5, v6
	v_cmp_eq_u32_e64 s[0:1], 3, v6
	v_cvt_f64_f32_e32 v[6:7], v7
	v_lshrrev_b32_e32 v4, 2, v4
	s_or_b64 vcc, s[0:1], vcc
	v_addc_co_u32_e32 v4, vcc, 0, v4, vcc
	v_mul_f64 v[6:7], v[6:7], s[2:3]
	v_cmp_gt_i32_e32 vcc, 31, v9
	v_cndmask_b32_e32 v4, v8, v4, vcc
	v_cmp_ne_u32_e32 vcc, 0, v2
	v_cndmask_b32_e64 v2, 0, 1, vcc
	v_lshl_or_b32 v2, v2, 9, v8
	v_cmp_eq_u32_e32 vcc, s10, v9
	v_cndmask_b32_e32 v2, v4, v2, vcc
	v_lshrrev_b32_e32 v4, 16, v10
	v_and_or_b32 v2, v4, s11, v2
	v_and_or_b32 v4, v7, s6, v6
	v_cmp_ne_u32_e32 vcc, 0, v4
	v_cndmask_b32_e64 v4, 0, 1, vcc
	v_lshrrev_b32_e32 v6, 8, v7
	v_bfe_u32 v9, v7, 20, 11
	v_and_or_b32 v4, v6, s7, v4
	v_sub_u32_e32 v10, 0x3f1, v9
	v_or_b32_e32 v6, 0x1000, v4
	v_med3_i32 v10, v10, 0, 13
	v_lshrrev_b32_e32 v13, v10, v6
	v_lshlrev_b32_e32 v10, v10, v13
	v_cmp_ne_u32_e32 vcc, v10, v6
	v_cndmask_b32_e64 v6, 0, 1, vcc
	v_add_u32_e32 v9, 0xfffffc10, v9
	v_or_b32_e32 v6, v13, v6
	v_lshl_or_b32 v10, v9, 12, v4
	v_cmp_gt_i32_e32 vcc, 1, v9
	v_cndmask_b32_e32 v6, v10, v6, vcc
	v_and_b32_e32 v10, 7, v6
	v_lshrrev_b32_e32 v13, 16, v0
	v_cmp_lt_i32_e32 vcc, 5, v10
	v_cmp_eq_u32_e64 s[0:1], 3, v10
	v_mul_f16_sdwa v10, v38, v13 dst_sel:DWORD dst_unused:UNUSED_PAD src0_sel:WORD_1 src1_sel:DWORD
	v_fma_f16 v10, v38, v0, v10
	v_lshrrev_b32_e32 v6, 2, v6
	s_or_b64 vcc, s[0:1], vcc
	v_cvt_f32_f16_e32 v10, v10
	v_addc_co_u32_e32 v6, vcc, 0, v6, vcc
	v_cmp_gt_i32_e32 vcc, 31, v9
	v_cndmask_b32_e32 v6, v8, v6, vcc
	v_cmp_ne_u32_e32 vcc, 0, v4
	v_cndmask_b32_e64 v4, 0, 1, vcc
	v_cmp_eq_u32_e32 vcc, s10, v9
	v_cvt_f64_f32_e32 v[9:10], v10
	v_lshl_or_b32 v4, v4, 9, v8
	v_cndmask_b32_e32 v4, v6, v4, vcc
	v_lshrrev_b32_e32 v6, 16, v7
	v_and_or_b32 v4, v6, s11, v4
	v_mul_f64 v[6:7], v[9:10], s[2:3]
	v_and_b32_e32 v2, 0xffff, v2
	v_lshl_or_b32 v2, v4, 16, v2
	v_mov_b32_e32 v4, s4
	v_add_co_u32_e32 v9, vcc, s5, v11
	v_addc_co_u32_e32 v10, vcc, v12, v4, vcc
	global_store_dword v[9:10], v2, off
	v_and_or_b32 v2, v7, s6, v6
	v_cmp_ne_u32_e32 vcc, 0, v2
	v_cndmask_b32_e64 v2, 0, 1, vcc
	v_lshrrev_b32_e32 v4, 8, v7
	v_bfe_u32 v6, v7, 20, 11
	v_and_or_b32 v2, v4, s7, v2
	v_sub_u32_e32 v11, 0x3f1, v6
	v_or_b32_e32 v4, 0x1000, v2
	v_med3_i32 v11, v11, 0, 13
	v_lshrrev_b32_e32 v12, v11, v4
	v_lshlrev_b32_e32 v11, v11, v12
	v_mul_f16_sdwa v0, v38, v0 dst_sel:DWORD dst_unused:UNUSED_PAD src0_sel:WORD_1 src1_sel:DWORD
	v_cmp_ne_u32_e32 vcc, v11, v4
	v_fma_f16 v0, v38, v13, -v0
	v_cndmask_b32_e64 v4, 0, 1, vcc
	v_add_u32_e32 v6, 0xfffffc10, v6
	v_cvt_f32_f16_e32 v0, v0
	v_or_b32_e32 v4, v12, v4
	v_lshl_or_b32 v11, v6, 12, v2
	v_cmp_gt_i32_e32 vcc, 1, v6
	v_cndmask_b32_e32 v4, v11, v4, vcc
	v_and_b32_e32 v11, 7, v4
	v_cmp_lt_i32_e32 vcc, 5, v11
	v_cmp_eq_u32_e64 s[0:1], 3, v11
	v_cvt_f64_f32_e32 v[11:12], v0
	v_lshrrev_b32_e32 v4, 2, v4
	s_or_b64 vcc, s[0:1], vcc
	v_addc_co_u32_e32 v0, vcc, 0, v4, vcc
	v_mul_f64 v[11:12], v[11:12], s[2:3]
	v_cmp_gt_i32_e32 vcc, 31, v6
	v_cndmask_b32_e32 v0, v8, v0, vcc
	v_cmp_ne_u32_e32 vcc, 0, v2
	v_cndmask_b32_e64 v2, 0, 1, vcc
	v_lshl_or_b32 v2, v2, 9, v8
	v_cmp_eq_u32_e32 vcc, s10, v6
	v_cndmask_b32_e32 v0, v0, v2, vcc
	v_lshrrev_b32_e32 v2, 16, v7
	v_and_or_b32 v0, v2, s11, v0
	v_and_or_b32 v2, v12, s6, v11
	v_cmp_ne_u32_e32 vcc, 0, v2
	v_cndmask_b32_e64 v2, 0, 1, vcc
	v_lshrrev_b32_e32 v4, 8, v12
	v_bfe_u32 v6, v12, 20, 11
	v_and_or_b32 v2, v4, s7, v2
	v_sub_u32_e32 v7, 0x3f1, v6
	v_or_b32_e32 v4, 0x1000, v2
	v_med3_i32 v7, v7, 0, 13
	v_lshrrev_b32_e32 v11, v7, v4
	v_lshlrev_b32_e32 v7, v7, v11
	v_cmp_ne_u32_e32 vcc, v7, v4
	v_cndmask_b32_e64 v4, 0, 1, vcc
	v_or_b32_e32 v4, v11, v4
	v_add_u32_e32 v11, 0xfffffc10, v6
	v_lshl_or_b32 v6, v11, 12, v2
	v_cmp_gt_i32_e32 vcc, 1, v11
	v_cndmask_b32_e32 v4, v6, v4, vcc
	v_and_b32_e32 v6, 7, v4
	v_lshrrev_b32_e32 v13, 16, v3
	v_cmp_lt_i32_e32 vcc, 5, v6
	v_cmp_eq_u32_e64 s[0:1], 3, v6
	v_mul_f16_sdwa v6, v36, v13 dst_sel:DWORD dst_unused:UNUSED_PAD src0_sel:WORD_1 src1_sel:DWORD
	v_fma_f16 v6, v36, v3, v6
	v_cvt_f32_f16_e32 v6, v6
	v_lshrrev_b32_e32 v4, 2, v4
	s_or_b64 vcc, s[0:1], vcc
	v_addc_co_u32_e32 v4, vcc, 0, v4, vcc
	v_cvt_f64_f32_e32 v[6:7], v6
	v_cmp_gt_i32_e32 vcc, 31, v11
	v_cndmask_b32_e32 v4, v8, v4, vcc
	v_cmp_ne_u32_e32 vcc, 0, v2
	v_mul_f64 v[6:7], v[6:7], s[2:3]
	v_cndmask_b32_e64 v2, 0, 1, vcc
	v_mad_u64_u32 v[9:10], s[0:1], s8, v35, v[9:10]
	v_lshl_or_b32 v2, v2, 9, v8
	v_cmp_eq_u32_e32 vcc, s10, v11
	v_cndmask_b32_e32 v2, v4, v2, vcc
	v_lshrrev_b32_e32 v4, 16, v12
	v_and_or_b32 v2, v4, s11, v2
	v_and_b32_e32 v0, 0xffff, v0
	v_lshl_or_b32 v0, v2, 16, v0
	v_add_u32_e32 v10, s9, v10
	global_store_dword v[9:10], v0, off
	v_and_or_b32 v0, v7, s6, v6
	v_cmp_ne_u32_e32 vcc, 0, v0
	v_cndmask_b32_e64 v0, 0, 1, vcc
	v_lshrrev_b32_e32 v2, 8, v7
	v_bfe_u32 v4, v7, 20, 11
	v_and_or_b32 v0, v2, s7, v0
	v_sub_u32_e32 v6, 0x3f1, v4
	v_or_b32_e32 v2, 0x1000, v0
	v_med3_i32 v6, v6, 0, 13
	v_lshrrev_b32_e32 v11, v6, v2
	v_lshlrev_b32_e32 v6, v6, v11
	v_mul_f16_sdwa v3, v36, v3 dst_sel:DWORD dst_unused:UNUSED_PAD src0_sel:WORD_1 src1_sel:DWORD
	v_cmp_ne_u32_e32 vcc, v6, v2
	v_fma_f16 v3, v36, v13, -v3
	v_cndmask_b32_e64 v2, 0, 1, vcc
	v_add_u32_e32 v4, 0xfffffc10, v4
	v_cvt_f32_f16_e32 v3, v3
	v_or_b32_e32 v2, v11, v2
	v_lshl_or_b32 v6, v4, 12, v0
	v_cmp_gt_i32_e32 vcc, 1, v4
	v_cndmask_b32_e32 v2, v6, v2, vcc
	v_and_b32_e32 v6, 7, v2
	v_cmp_lt_i32_e32 vcc, 5, v6
	v_cmp_eq_u32_e64 s[0:1], 3, v6
	v_lshrrev_b32_e32 v6, 2, v2
	v_cvt_f64_f32_e32 v[2:3], v3
	s_or_b64 vcc, s[0:1], vcc
	v_addc_co_u32_e32 v6, vcc, 0, v6, vcc
	v_mul_f64 v[2:3], v[2:3], s[2:3]
	v_cmp_gt_i32_e32 vcc, 31, v4
	v_cndmask_b32_e32 v6, v8, v6, vcc
	v_cmp_ne_u32_e32 vcc, 0, v0
	v_cndmask_b32_e64 v0, 0, 1, vcc
	v_lshl_or_b32 v0, v0, 9, v8
	v_cmp_eq_u32_e32 vcc, s10, v4
	v_cndmask_b32_e32 v0, v6, v0, vcc
	v_and_or_b32 v2, v3, s6, v2
	v_lshrrev_b32_e32 v4, 16, v7
	v_cmp_ne_u32_e32 vcc, 0, v2
	v_and_or_b32 v0, v4, s11, v0
	v_cndmask_b32_e64 v2, 0, 1, vcc
	v_lshrrev_b32_e32 v4, 8, v3
	v_bfe_u32 v6, v3, 20, 11
	v_and_or_b32 v2, v4, s7, v2
	v_sub_u32_e32 v7, 0x3f1, v6
	v_or_b32_e32 v4, 0x1000, v2
	v_med3_i32 v7, v7, 0, 13
	v_lshrrev_b32_e32 v11, v7, v4
	v_lshlrev_b32_e32 v7, v7, v11
	v_cmp_ne_u32_e32 vcc, v7, v4
	v_cndmask_b32_e64 v4, 0, 1, vcc
	v_add_u32_e32 v6, 0xfffffc10, v6
	v_or_b32_e32 v4, v11, v4
	v_lshl_or_b32 v7, v6, 12, v2
	v_cmp_gt_i32_e32 vcc, 1, v6
	v_cndmask_b32_e32 v4, v7, v4, vcc
	v_and_b32_e32 v7, 7, v4
	v_lshrrev_b32_e32 v11, 16, v1
	v_cmp_lt_i32_e32 vcc, 5, v7
	v_cmp_eq_u32_e64 s[0:1], 3, v7
	v_mul_f16_sdwa v7, v37, v11 dst_sel:DWORD dst_unused:UNUSED_PAD src0_sel:WORD_1 src1_sel:DWORD
	v_fma_f16 v7, v37, v1, v7
	v_lshrrev_b32_e32 v4, 2, v4
	s_or_b64 vcc, s[0:1], vcc
	v_cvt_f32_f16_e32 v7, v7
	v_addc_co_u32_e32 v4, vcc, 0, v4, vcc
	v_cmp_gt_i32_e32 vcc, 31, v6
	v_cndmask_b32_e32 v4, v8, v4, vcc
	v_cmp_ne_u32_e32 vcc, 0, v2
	v_cndmask_b32_e64 v2, 0, 1, vcc
	v_cmp_eq_u32_e32 vcc, s10, v6
	v_cvt_f64_f32_e32 v[6:7], v7
	v_lshl_or_b32 v2, v2, 9, v8
	v_cndmask_b32_e32 v2, v4, v2, vcc
	v_lshrrev_b32_e32 v3, 16, v3
	v_and_or_b32 v4, v3, s11, v2
	v_mul_f64 v[2:3], v[6:7], s[2:3]
	v_and_b32_e32 v0, 0xffff, v0
	v_lshl_or_b32 v0, v4, 16, v0
	v_mov_b32_e32 v4, s4
	v_add_co_u32_e32 v6, vcc, s5, v9
	v_addc_co_u32_e32 v7, vcc, v10, v4, vcc
	global_store_dword v[6:7], v0, off
	v_and_or_b32 v0, v3, s6, v2
	v_cmp_ne_u32_e32 vcc, 0, v0
	v_cndmask_b32_e64 v0, 0, 1, vcc
	v_lshrrev_b32_e32 v2, 8, v3
	v_bfe_u32 v4, v3, 20, 11
	v_and_or_b32 v2, v2, s7, v0
	v_sub_u32_e32 v9, 0x3f1, v4
	v_or_b32_e32 v0, 0x1000, v2
	v_med3_i32 v9, v9, 0, 13
	v_lshrrev_b32_e32 v10, v9, v0
	v_lshlrev_b32_e32 v9, v9, v10
	v_mul_f16_sdwa v1, v37, v1 dst_sel:DWORD dst_unused:UNUSED_PAD src0_sel:WORD_1 src1_sel:DWORD
	v_cmp_ne_u32_e32 vcc, v9, v0
	v_fma_f16 v1, v37, v11, -v1
	v_cndmask_b32_e64 v0, 0, 1, vcc
	v_add_u32_e32 v4, 0xfffffc10, v4
	v_cvt_f32_f16_e32 v1, v1
	v_or_b32_e32 v0, v10, v0
	v_lshl_or_b32 v9, v4, 12, v2
	v_cmp_gt_i32_e32 vcc, 1, v4
	v_cndmask_b32_e32 v0, v9, v0, vcc
	v_and_b32_e32 v9, 7, v0
	v_cmp_lt_i32_e32 vcc, 5, v9
	v_cmp_eq_u32_e64 s[0:1], 3, v9
	v_lshrrev_b32_e32 v9, 2, v0
	v_cvt_f64_f32_e32 v[0:1], v1
	s_or_b64 vcc, s[0:1], vcc
	v_addc_co_u32_e32 v9, vcc, 0, v9, vcc
	v_mul_f64 v[0:1], v[0:1], s[2:3]
	v_cmp_gt_i32_e32 vcc, 31, v4
	v_cndmask_b32_e32 v9, v8, v9, vcc
	v_cmp_ne_u32_e32 vcc, 0, v2
	v_cndmask_b32_e64 v2, 0, 1, vcc
	v_lshl_or_b32 v2, v2, 9, v8
	v_cmp_eq_u32_e32 vcc, s10, v4
	v_cndmask_b32_e32 v2, v9, v2, vcc
	v_and_or_b32 v0, v1, s6, v0
	v_lshrrev_b32_e32 v3, 16, v3
	v_cmp_ne_u32_e32 vcc, 0, v0
	v_and_or_b32 v4, v3, s11, v2
	v_cndmask_b32_e64 v0, 0, 1, vcc
	v_lshrrev_b32_e32 v2, 8, v1
	v_bfe_u32 v3, v1, 20, 11
	v_and_or_b32 v0, v2, s7, v0
	v_sub_u32_e32 v9, 0x3f1, v3
	v_or_b32_e32 v2, 0x1000, v0
	v_med3_i32 v9, v9, 0, 13
	v_lshrrev_b32_e32 v10, v9, v2
	v_lshlrev_b32_e32 v9, v9, v10
	v_cmp_ne_u32_e32 vcc, v9, v2
	v_cndmask_b32_e64 v2, 0, 1, vcc
	v_add_u32_e32 v3, 0xfffffc10, v3
	v_or_b32_e32 v2, v10, v2
	v_lshl_or_b32 v9, v3, 12, v0
	v_cmp_gt_i32_e32 vcc, 1, v3
	v_cndmask_b32_e32 v2, v9, v2, vcc
	v_and_b32_e32 v9, 7, v2
	v_cmp_lt_i32_e32 vcc, 5, v9
	v_cmp_eq_u32_e64 s[0:1], 3, v9
	v_lshrrev_b32_e32 v9, 16, v5
	v_lshrrev_b32_e32 v2, 2, v2
	s_or_b64 vcc, s[0:1], vcc
	v_mul_f16_sdwa v10, v34, v9 dst_sel:DWORD dst_unused:UNUSED_PAD src0_sel:WORD_1 src1_sel:DWORD
	v_addc_co_u32_e32 v2, vcc, 0, v2, vcc
	v_fma_f16 v10, v34, v5, v10
	v_cmp_gt_i32_e32 vcc, 31, v3
	v_cvt_f32_f16_e32 v10, v10
	v_cndmask_b32_e32 v2, v8, v2, vcc
	v_cmp_ne_u32_e32 vcc, 0, v0
	v_cndmask_b32_e64 v0, 0, 1, vcc
	v_lshl_or_b32 v0, v0, 9, v8
	v_cmp_eq_u32_e32 vcc, s10, v3
	v_cndmask_b32_e32 v0, v2, v0, vcc
	v_cvt_f64_f32_e32 v[2:3], v10
	v_lshrrev_b32_e32 v1, 16, v1
	v_and_or_b32 v10, v1, s11, v0
	v_and_b32_e32 v4, 0xffff, v4
	v_mul_f64 v[0:1], v[2:3], s[2:3]
	v_mov_b32_e32 v3, s4
	v_add_co_u32_e32 v2, vcc, s5, v6
	v_addc_co_u32_e32 v3, vcc, v7, v3, vcc
	v_lshl_or_b32 v4, v10, 16, v4
	global_store_dword v[2:3], v4, off
	v_and_or_b32 v0, v1, s6, v0
	v_cmp_ne_u32_e32 vcc, 0, v0
	v_cndmask_b32_e64 v0, 0, 1, vcc
	v_lshrrev_b32_e32 v4, 8, v1
	v_bfe_u32 v6, v1, 20, 11
	v_and_or_b32 v0, v4, s7, v0
	v_sub_u32_e32 v7, 0x3f1, v6
	v_or_b32_e32 v4, 0x1000, v0
	v_med3_i32 v7, v7, 0, 13
	v_lshrrev_b32_e32 v10, v7, v4
	v_lshlrev_b32_e32 v7, v7, v10
	v_mul_f16_sdwa v5, v34, v5 dst_sel:DWORD dst_unused:UNUSED_PAD src0_sel:WORD_1 src1_sel:DWORD
	v_cmp_ne_u32_e32 vcc, v7, v4
	v_fma_f16 v5, v34, v9, -v5
	v_cndmask_b32_e64 v4, 0, 1, vcc
	v_add_u32_e32 v6, 0xfffffc10, v6
	v_cvt_f32_f16_e32 v5, v5
	v_or_b32_e32 v4, v10, v4
	v_lshl_or_b32 v7, v6, 12, v0
	v_cmp_gt_i32_e32 vcc, 1, v6
	v_cndmask_b32_e32 v4, v7, v4, vcc
	v_and_b32_e32 v7, 7, v4
	v_cmp_lt_i32_e32 vcc, 5, v7
	v_cmp_eq_u32_e64 s[0:1], 3, v7
	v_lshrrev_b32_e32 v7, 2, v4
	v_cvt_f64_f32_e32 v[4:5], v5
	s_or_b64 vcc, s[0:1], vcc
	v_addc_co_u32_e32 v7, vcc, 0, v7, vcc
	v_mul_f64 v[4:5], v[4:5], s[2:3]
	v_cmp_gt_i32_e32 vcc, 31, v6
	v_cndmask_b32_e32 v7, v8, v7, vcc
	v_cmp_ne_u32_e32 vcc, 0, v0
	v_cndmask_b32_e64 v0, 0, 1, vcc
	v_lshl_or_b32 v0, v0, 9, v8
	v_cmp_eq_u32_e32 vcc, s10, v6
	v_cndmask_b32_e32 v0, v7, v0, vcc
	v_lshrrev_b32_e32 v1, 16, v1
	v_and_or_b32 v6, v1, s11, v0
	v_and_or_b32 v0, v5, s6, v4
	v_cmp_ne_u32_e32 vcc, 0, v0
	v_cndmask_b32_e64 v0, 0, 1, vcc
	v_lshrrev_b32_e32 v1, 8, v5
	v_bfe_u32 v4, v5, 20, 11
	v_and_or_b32 v0, v1, s7, v0
	v_sub_u32_e32 v7, 0x3f1, v4
	v_or_b32_e32 v1, 0x1000, v0
	v_med3_i32 v7, v7, 0, 13
	v_lshrrev_b32_e32 v9, v7, v1
	v_lshlrev_b32_e32 v7, v7, v9
	v_cmp_ne_u32_e32 vcc, v7, v1
	v_cndmask_b32_e64 v1, 0, 1, vcc
	v_add_u32_e32 v4, 0xfffffc10, v4
	v_or_b32_e32 v1, v9, v1
	v_lshl_or_b32 v7, v4, 12, v0
	v_cmp_gt_i32_e32 vcc, 1, v4
	v_cndmask_b32_e32 v1, v7, v1, vcc
	v_and_b32_e32 v7, 7, v1
	v_cmp_lt_i32_e32 vcc, 5, v7
	v_cmp_eq_u32_e64 s[0:1], 3, v7
	ds_read_b32 v7, v32 offset:504
	v_lshrrev_b32_e32 v1, 2, v1
	s_or_b64 vcc, s[0:1], vcc
	v_addc_co_u32_e32 v1, vcc, 0, v1, vcc
	s_waitcnt lgkmcnt(0)
	v_lshrrev_b32_e32 v9, 16, v7
	v_mul_f16_sdwa v10, v33, v9 dst_sel:DWORD dst_unused:UNUSED_PAD src0_sel:WORD_1 src1_sel:DWORD
	v_fma_f16 v10, v33, v7, v10
	v_cmp_gt_i32_e32 vcc, 31, v4
	v_cvt_f32_f16_e32 v10, v10
	v_cndmask_b32_e32 v1, v8, v1, vcc
	v_cmp_ne_u32_e32 vcc, 0, v0
	v_cndmask_b32_e64 v0, 0, 1, vcc
	v_lshl_or_b32 v0, v0, 9, v8
	v_cmp_eq_u32_e32 vcc, s10, v4
	v_cndmask_b32_e32 v4, v1, v0, vcc
	v_cvt_f64_f32_e32 v[0:1], v10
	v_lshrrev_b32_e32 v5, 16, v5
	v_and_or_b32 v4, v5, s11, v4
	v_and_b32_e32 v5, 0xffff, v6
	v_mul_f64 v[0:1], v[0:1], s[2:3]
	v_lshl_or_b32 v4, v4, 16, v5
	v_mov_b32_e32 v5, s4
	v_add_co_u32_e32 v2, vcc, s5, v2
	v_addc_co_u32_e32 v3, vcc, v3, v5, vcc
	global_store_dword v[2:3], v4, off
	v_and_or_b32 v0, v1, s6, v0
	v_cmp_ne_u32_e32 vcc, 0, v0
	v_cndmask_b32_e64 v0, 0, 1, vcc
	v_lshrrev_b32_e32 v4, 8, v1
	v_bfe_u32 v5, v1, 20, 11
	v_and_or_b32 v0, v4, s7, v0
	v_sub_u32_e32 v6, 0x3f1, v5
	v_or_b32_e32 v4, 0x1000, v0
	v_med3_i32 v6, v6, 0, 13
	v_lshrrev_b32_e32 v10, v6, v4
	v_lshlrev_b32_e32 v6, v6, v10
	v_mul_f16_sdwa v7, v33, v7 dst_sel:DWORD dst_unused:UNUSED_PAD src0_sel:WORD_1 src1_sel:DWORD
	v_cmp_ne_u32_e32 vcc, v6, v4
	v_fma_f16 v7, v33, v9, -v7
	v_cndmask_b32_e64 v4, 0, 1, vcc
	v_add_u32_e32 v6, 0xfffffc10, v5
	v_cvt_f32_f16_e32 v7, v7
	v_or_b32_e32 v4, v10, v4
	v_lshl_or_b32 v5, v6, 12, v0
	v_cmp_gt_i32_e32 vcc, 1, v6
	v_cndmask_b32_e32 v4, v5, v4, vcc
	v_and_b32_e32 v5, 7, v4
	v_cmp_lt_i32_e32 vcc, 5, v5
	v_cmp_eq_u32_e64 s[0:1], 3, v5
	v_lshrrev_b32_e32 v9, 2, v4
	v_cvt_f64_f32_e32 v[4:5], v7
	s_or_b64 vcc, s[0:1], vcc
	v_addc_co_u32_e32 v7, vcc, 0, v9, vcc
	v_mul_f64 v[4:5], v[4:5], s[2:3]
	v_cmp_gt_i32_e32 vcc, 31, v6
	v_cndmask_b32_e32 v7, v8, v7, vcc
	v_cmp_ne_u32_e32 vcc, 0, v0
	v_cndmask_b32_e64 v0, 0, 1, vcc
	v_lshl_or_b32 v0, v0, 9, v8
	v_cmp_eq_u32_e32 vcc, s10, v6
	v_cndmask_b32_e32 v0, v7, v0, vcc
	v_lshrrev_b32_e32 v1, 16, v1
	v_and_or_b32 v0, v1, s11, v0
	v_and_or_b32 v1, v5, s6, v4
	v_cmp_ne_u32_e32 vcc, 0, v1
	v_cndmask_b32_e64 v1, 0, 1, vcc
	v_lshrrev_b32_e32 v4, 8, v5
	v_bfe_u32 v6, v5, 20, 11
	v_and_or_b32 v1, v4, s7, v1
	v_sub_u32_e32 v7, 0x3f1, v6
	v_or_b32_e32 v4, 0x1000, v1
	v_med3_i32 v7, v7, 0, 13
	v_lshrrev_b32_e32 v9, v7, v4
	v_lshlrev_b32_e32 v7, v7, v9
	v_cmp_ne_u32_e32 vcc, v7, v4
	v_cndmask_b32_e64 v4, 0, 1, vcc
	v_add_u32_e32 v6, 0xfffffc10, v6
	v_or_b32_e32 v4, v9, v4
	v_lshl_or_b32 v7, v6, 12, v1
	v_cmp_gt_i32_e32 vcc, 1, v6
	v_cndmask_b32_e32 v4, v7, v4, vcc
	v_and_b32_e32 v7, 7, v4
	v_cmp_lt_i32_e32 vcc, 5, v7
	v_cmp_eq_u32_e64 s[0:1], 3, v7
	v_lshrrev_b32_e32 v4, 2, v4
	s_or_b64 vcc, s[0:1], vcc
	v_addc_co_u32_e32 v4, vcc, 0, v4, vcc
	v_cmp_gt_i32_e32 vcc, 31, v6
	v_cndmask_b32_e32 v4, v8, v4, vcc
	v_cmp_ne_u32_e32 vcc, 0, v1
	v_cndmask_b32_e64 v1, 0, 1, vcc
	v_lshl_or_b32 v1, v1, 9, v8
	v_cmp_eq_u32_e32 vcc, s10, v6
	v_cndmask_b32_e32 v1, v4, v1, vcc
	v_lshrrev_b32_e32 v4, 16, v5
	v_and_or_b32 v1, v4, s11, v1
	v_and_b32_e32 v0, 0xffff, v0
	v_lshl_or_b32 v4, v1, 16, v0
	v_mov_b32_e32 v1, s4
	v_add_co_u32_e32 v0, vcc, s5, v2
	v_addc_co_u32_e32 v1, vcc, v3, v1, vcc
	global_store_dword v[0:1], v4, off
.LBB0_2:
	s_endpgm
	.section	.rodata,"a",@progbits
	.p2align	6, 0x0
	.amdhsa_kernel bluestein_single_back_len135_dim1_half_op_CI_CI
		.amdhsa_group_segment_fixed_size 7560
		.amdhsa_private_segment_fixed_size 0
		.amdhsa_kernarg_size 104
		.amdhsa_user_sgpr_count 6
		.amdhsa_user_sgpr_private_segment_buffer 1
		.amdhsa_user_sgpr_dispatch_ptr 0
		.amdhsa_user_sgpr_queue_ptr 0
		.amdhsa_user_sgpr_kernarg_segment_ptr 1
		.amdhsa_user_sgpr_dispatch_id 0
		.amdhsa_user_sgpr_flat_scratch_init 0
		.amdhsa_user_sgpr_private_segment_size 0
		.amdhsa_uses_dynamic_stack 0
		.amdhsa_system_sgpr_private_segment_wavefront_offset 0
		.amdhsa_system_sgpr_workgroup_id_x 1
		.amdhsa_system_sgpr_workgroup_id_y 0
		.amdhsa_system_sgpr_workgroup_id_z 0
		.amdhsa_system_sgpr_workgroup_info 0
		.amdhsa_system_vgpr_workitem_id 0
		.amdhsa_next_free_vgpr 82
		.amdhsa_next_free_sgpr 20
		.amdhsa_reserve_vcc 1
		.amdhsa_reserve_flat_scratch 0
		.amdhsa_float_round_mode_32 0
		.amdhsa_float_round_mode_16_64 0
		.amdhsa_float_denorm_mode_32 3
		.amdhsa_float_denorm_mode_16_64 3
		.amdhsa_dx10_clamp 1
		.amdhsa_ieee_mode 1
		.amdhsa_fp16_overflow 0
		.amdhsa_exception_fp_ieee_invalid_op 0
		.amdhsa_exception_fp_denorm_src 0
		.amdhsa_exception_fp_ieee_div_zero 0
		.amdhsa_exception_fp_ieee_overflow 0
		.amdhsa_exception_fp_ieee_underflow 0
		.amdhsa_exception_fp_ieee_inexact 0
		.amdhsa_exception_int_div_zero 0
	.end_amdhsa_kernel
	.text
.Lfunc_end0:
	.size	bluestein_single_back_len135_dim1_half_op_CI_CI, .Lfunc_end0-bluestein_single_back_len135_dim1_half_op_CI_CI
                                        ; -- End function
	.section	.AMDGPU.csdata,"",@progbits
; Kernel info:
; codeLenInByte = 19252
; NumSgprs: 24
; NumVgprs: 82
; ScratchSize: 0
; MemoryBound: 0
; FloatMode: 240
; IeeeMode: 1
; LDSByteSize: 7560 bytes/workgroup (compile time only)
; SGPRBlocks: 2
; VGPRBlocks: 20
; NumSGPRsForWavesPerEU: 24
; NumVGPRsForWavesPerEU: 82
; Occupancy: 3
; WaveLimiterHint : 1
; COMPUTE_PGM_RSRC2:SCRATCH_EN: 0
; COMPUTE_PGM_RSRC2:USER_SGPR: 6
; COMPUTE_PGM_RSRC2:TRAP_HANDLER: 0
; COMPUTE_PGM_RSRC2:TGID_X_EN: 1
; COMPUTE_PGM_RSRC2:TGID_Y_EN: 0
; COMPUTE_PGM_RSRC2:TGID_Z_EN: 0
; COMPUTE_PGM_RSRC2:TIDIG_COMP_CNT: 0
	.type	__hip_cuid_8cc424dd3c01acc9,@object ; @__hip_cuid_8cc424dd3c01acc9
	.section	.bss,"aw",@nobits
	.globl	__hip_cuid_8cc424dd3c01acc9
__hip_cuid_8cc424dd3c01acc9:
	.byte	0                               ; 0x0
	.size	__hip_cuid_8cc424dd3c01acc9, 1

	.ident	"AMD clang version 19.0.0git (https://github.com/RadeonOpenCompute/llvm-project roc-6.4.0 25133 c7fe45cf4b819c5991fe208aaa96edf142730f1d)"
	.section	".note.GNU-stack","",@progbits
	.addrsig
	.addrsig_sym __hip_cuid_8cc424dd3c01acc9
	.amdgpu_metadata
---
amdhsa.kernels:
  - .args:
      - .actual_access:  read_only
        .address_space:  global
        .offset:         0
        .size:           8
        .value_kind:     global_buffer
      - .actual_access:  read_only
        .address_space:  global
        .offset:         8
        .size:           8
        .value_kind:     global_buffer
      - .actual_access:  read_only
        .address_space:  global
        .offset:         16
        .size:           8
        .value_kind:     global_buffer
      - .actual_access:  read_only
        .address_space:  global
        .offset:         24
        .size:           8
        .value_kind:     global_buffer
      - .actual_access:  read_only
        .address_space:  global
        .offset:         32
        .size:           8
        .value_kind:     global_buffer
      - .offset:         40
        .size:           8
        .value_kind:     by_value
      - .address_space:  global
        .offset:         48
        .size:           8
        .value_kind:     global_buffer
      - .address_space:  global
        .offset:         56
        .size:           8
        .value_kind:     global_buffer
      - .address_space:  global
        .offset:         64
        .size:           8
        .value_kind:     global_buffer
      - .address_space:  global
        .offset:         72
        .size:           8
        .value_kind:     global_buffer
      - .offset:         80
        .size:           4
        .value_kind:     by_value
      - .address_space:  global
        .offset:         88
        .size:           8
        .value_kind:     global_buffer
      - .address_space:  global
        .offset:         96
        .size:           8
        .value_kind:     global_buffer
    .group_segment_fixed_size: 7560
    .kernarg_segment_align: 8
    .kernarg_segment_size: 104
    .language:       OpenCL C
    .language_version:
      - 2
      - 0
    .max_flat_workgroup_size: 126
    .name:           bluestein_single_back_len135_dim1_half_op_CI_CI
    .private_segment_fixed_size: 0
    .sgpr_count:     24
    .sgpr_spill_count: 0
    .symbol:         bluestein_single_back_len135_dim1_half_op_CI_CI.kd
    .uniform_work_group_size: 1
    .uses_dynamic_stack: false
    .vgpr_count:     82
    .vgpr_spill_count: 0
    .wavefront_size: 64
amdhsa.target:   amdgcn-amd-amdhsa--gfx906
amdhsa.version:
  - 1
  - 2
...

	.end_amdgpu_metadata
